;; amdgpu-corpus repo=ROCm/rocm-libraries kind=compiled arch=gfx1100 opt=O3
	.text
	.amdgcn_target "amdgcn-amd-amdhsa--gfx1100"
	.amdhsa_code_object_version 6
	.protected	batched_transpose_16x16_dword ; -- Begin function batched_transpose_16x16_dword
	.globl	batched_transpose_16x16_dword
	.p2align	8
	.type	batched_transpose_16x16_dword,@function
batched_transpose_16x16_dword:          ; @batched_transpose_16x16_dword
; %bb.0:
	s_load_b256 s[4:11], s[0:1], 0x10
	s_waitcnt lgkmcnt(0)
	s_cmp_ge_u32 s15, s7
	s_cbranch_scc1 .LBB0_7
; %bb.1:
	s_load_b128 s[16:19], s[0:1], 0x0
	v_lshrrev_b32_e32 v4, 4, v0
	v_and_b32_e32 v5, 15, v0
	s_add_i32 s0, s4, 15
	s_mov_b32 s2, s5
	s_lshr_b32 s1, s0, 4
	v_mul_u32_u24_e32 v0, 17, v4
	v_mul_u32_u24_e32 v1, 17, v5
	s_add_i32 s0, s5, 15
	s_lshl_b32 s12, s15, 4
	s_and_b32 s0, s0, -16
	v_add_lshl_u32 v6, v0, v5, 2
	v_add_lshl_u32 v7, v1, v4, 2
	v_mov_b32_e32 v1, 0
	s_sub_i32 s3, 0, s0
	s_lshl_b32 s13, s6, 4
	s_branch .LBB0_3
.LBB0_2:                                ;   in Loop: Header=BB0_3 Depth=1
	s_or_b32 exec_lo, exec_lo, s0
	s_add_i32 s15, s15, s6
	s_add_i32 s12, s12, s13
	s_cmp_lt_u32 s15, s7
	s_cbranch_scc0 .LBB0_7
.LBB0_3:                                ; =>This Inner Loop Header: Depth=1
	s_mul_hi_u32 s0, s10, s15
	s_waitcnt lgkmcnt(0)
	s_add_i32 s0, s15, s0
	s_waitcnt_vscnt null, 0x0
	s_barrier
	s_lshr_b32 s0, s0, s11
	buffer_gl0_inv
	s_mul_hi_u32 s14, s0, s8
	s_delay_alu instid0(SALU_CYCLE_1) | instskip(NEXT) | instid1(SALU_CYCLE_1)
	s_add_i32 s14, s0, s14
	s_lshr_b32 s14, s14, s9
	s_delay_alu instid0(SALU_CYCLE_1) | instskip(NEXT) | instid1(SALU_CYCLE_1)
	s_mul_i32 s20, s14, s1
	s_sub_i32 s20, s0, s20
	s_delay_alu instid0(SALU_CYCLE_1) | instskip(SKIP_3) | instid1(VALU_DEP_2)
	s_lshl_b32 s21, s20, 4
	s_mul_i32 s20, s3, s0
	v_or_b32_e32 v0, s21, v4
	v_add3_u32 v2, s20, s12, v5
	v_cmp_gt_u32_e32 vcc_lo, s4, v0
	s_delay_alu instid0(VALU_DEP_2) | instskip(NEXT) | instid1(VALU_DEP_1)
	v_cmp_gt_u32_e64 s0, s5, v2
	s_and_b32 s22, vcc_lo, s0
	s_delay_alu instid0(SALU_CYCLE_1)
	s_and_saveexec_b32 s0, s22
	s_cbranch_execz .LBB0_5
; %bb.4:                                ;   in Loop: Header=BB0_3 Depth=1
	v_mad_u64_u32 v[8:9], null, s14, s4, v[0:1]
	v_mov_b32_e32 v3, v1
	s_delay_alu instid0(VALU_DEP_1) | instskip(NEXT) | instid1(VALU_DEP_3)
	v_lshlrev_b64 v[2:3], 2, v[2:3]
	v_mad_u64_u32 v[10:11], null, v8, s2, 0
	s_delay_alu instid0(VALU_DEP_1) | instskip(NEXT) | instid1(VALU_DEP_1)
	v_mov_b32_e32 v0, v11
	v_mad_u64_u32 v[11:12], null, v9, s2, v[0:1]
	s_delay_alu instid0(VALU_DEP_1) | instskip(NEXT) | instid1(VALU_DEP_1)
	v_lshlrev_b64 v[8:9], 2, v[10:11]
	v_add_co_u32 v0, vcc_lo, s18, v8
	s_delay_alu instid0(VALU_DEP_2) | instskip(NEXT) | instid1(VALU_DEP_2)
	v_add_co_ci_u32_e32 v8, vcc_lo, s19, v9, vcc_lo
	v_add_co_u32 v2, vcc_lo, v0, v2
	s_delay_alu instid0(VALU_DEP_2)
	v_add_co_ci_u32_e32 v3, vcc_lo, v8, v3, vcc_lo
	global_load_b32 v0, v[2:3], off
	s_waitcnt vmcnt(0)
	ds_store_b32 v6, v0
.LBB0_5:                                ;   in Loop: Header=BB0_3 Depth=1
	s_or_b32 exec_lo, exec_lo, s0
	v_or_b32_e32 v2, s21, v5
	v_add3_u32 v0, s20, s12, v4
	s_waitcnt lgkmcnt(0)
	s_barrier
	buffer_gl0_inv
	v_cmp_gt_u32_e32 vcc_lo, s4, v2
	v_cmp_gt_u32_e64 s0, s5, v0
	s_delay_alu instid0(VALU_DEP_1) | instskip(NEXT) | instid1(SALU_CYCLE_1)
	s_and_b32 s20, s0, vcc_lo
	s_and_saveexec_b32 s0, s20
	s_cbranch_execz .LBB0_2
; %bb.6:                                ;   in Loop: Header=BB0_3 Depth=1
	v_mad_u64_u32 v[8:9], null, s14, s2, v[0:1]
	v_mov_b32_e32 v3, v1
	s_delay_alu instid0(VALU_DEP_1) | instskip(NEXT) | instid1(VALU_DEP_3)
	v_lshlrev_b64 v[2:3], 2, v[2:3]
	v_mad_u64_u32 v[10:11], null, v8, s4, 0
	s_delay_alu instid0(VALU_DEP_1) | instskip(NEXT) | instid1(VALU_DEP_1)
	v_mov_b32_e32 v0, v11
	v_mad_u64_u32 v[11:12], null, v9, s4, v[0:1]
	ds_load_b32 v0, v7
	v_lshlrev_b64 v[8:9], 2, v[10:11]
	s_delay_alu instid0(VALU_DEP_1) | instskip(NEXT) | instid1(VALU_DEP_2)
	v_add_co_u32 v8, vcc_lo, s16, v8
	v_add_co_ci_u32_e32 v9, vcc_lo, s17, v9, vcc_lo
	s_delay_alu instid0(VALU_DEP_2) | instskip(NEXT) | instid1(VALU_DEP_2)
	v_add_co_u32 v2, vcc_lo, v8, v2
	v_add_co_ci_u32_e32 v3, vcc_lo, v9, v3, vcc_lo
	s_waitcnt lgkmcnt(0)
	global_store_b32 v[2:3], v0, off
	s_branch .LBB0_2
.LBB0_7:
	s_nop 0
	s_sendmsg sendmsg(MSG_DEALLOC_VGPRS)
	s_endpgm
	.section	.rodata,"a",@progbits
	.p2align	6, 0x0
	.amdhsa_kernel batched_transpose_16x16_dword
		.amdhsa_group_segment_fixed_size 1088
		.amdhsa_private_segment_fixed_size 0
		.amdhsa_kernarg_size 48
		.amdhsa_user_sgpr_count 15
		.amdhsa_user_sgpr_dispatch_ptr 0
		.amdhsa_user_sgpr_queue_ptr 0
		.amdhsa_user_sgpr_kernarg_segment_ptr 1
		.amdhsa_user_sgpr_dispatch_id 0
		.amdhsa_user_sgpr_private_segment_size 0
		.amdhsa_wavefront_size32 1
		.amdhsa_uses_dynamic_stack 0
		.amdhsa_enable_private_segment 0
		.amdhsa_system_sgpr_workgroup_id_x 1
		.amdhsa_system_sgpr_workgroup_id_y 0
		.amdhsa_system_sgpr_workgroup_id_z 0
		.amdhsa_system_sgpr_workgroup_info 0
		.amdhsa_system_vgpr_workitem_id 0
		.amdhsa_next_free_vgpr 13
		.amdhsa_next_free_sgpr 23
		.amdhsa_reserve_vcc 1
		.amdhsa_float_round_mode_32 0
		.amdhsa_float_round_mode_16_64 0
		.amdhsa_float_denorm_mode_32 3
		.amdhsa_float_denorm_mode_16_64 3
		.amdhsa_dx10_clamp 1
		.amdhsa_ieee_mode 1
		.amdhsa_fp16_overflow 0
		.amdhsa_workgroup_processor_mode 1
		.amdhsa_memory_ordered 1
		.amdhsa_forward_progress 0
		.amdhsa_shared_vgpr_count 0
		.amdhsa_exception_fp_ieee_invalid_op 0
		.amdhsa_exception_fp_denorm_src 0
		.amdhsa_exception_fp_ieee_div_zero 0
		.amdhsa_exception_fp_ieee_overflow 0
		.amdhsa_exception_fp_ieee_underflow 0
		.amdhsa_exception_fp_ieee_inexact 0
		.amdhsa_exception_int_div_zero 0
	.end_amdhsa_kernel
	.text
.Lfunc_end0:
	.size	batched_transpose_16x16_dword, .Lfunc_end0-batched_transpose_16x16_dword
                                        ; -- End function
	.section	.AMDGPU.csdata,"",@progbits
; Kernel info:
; codeLenInByte = 532
; NumSgprs: 25
; NumVgprs: 13
; ScratchSize: 0
; MemoryBound: 0
; FloatMode: 240
; IeeeMode: 1
; LDSByteSize: 1088 bytes/workgroup (compile time only)
; SGPRBlocks: 3
; VGPRBlocks: 1
; NumSGPRsForWavesPerEU: 25
; NumVGPRsForWavesPerEU: 13
; Occupancy: 16
; WaveLimiterHint : 0
; COMPUTE_PGM_RSRC2:SCRATCH_EN: 0
; COMPUTE_PGM_RSRC2:USER_SGPR: 15
; COMPUTE_PGM_RSRC2:TRAP_HANDLER: 0
; COMPUTE_PGM_RSRC2:TGID_X_EN: 1
; COMPUTE_PGM_RSRC2:TGID_Y_EN: 0
; COMPUTE_PGM_RSRC2:TGID_Z_EN: 0
; COMPUTE_PGM_RSRC2:TIDIG_COMP_CNT: 0
	.text
	.protected	batched_transpose_16x16_half ; -- Begin function batched_transpose_16x16_half
	.globl	batched_transpose_16x16_half
	.p2align	8
	.type	batched_transpose_16x16_half,@function
batched_transpose_16x16_half:           ; @batched_transpose_16x16_half
; %bb.0:
	s_load_b256 s[4:11], s[0:1], 0x10
	s_waitcnt lgkmcnt(0)
	s_cmp_ge_u32 s15, s7
	s_cbranch_scc1 .LBB1_7
; %bb.1:
	s_load_b128 s[16:19], s[0:1], 0x0
	v_lshrrev_b32_e32 v4, 4, v0
	v_and_b32_e32 v5, 15, v0
	s_add_i32 s0, s4, 15
	s_mov_b32 s2, s5
	s_lshr_b32 s1, s0, 4
	v_mul_u32_u24_e32 v0, 18, v4
	v_mul_u32_u24_e32 v1, 18, v5
	s_add_i32 s0, s5, 15
	s_lshl_b32 s12, s15, 4
	s_and_b32 s0, s0, -16
	v_add_lshl_u32 v6, v0, v5, 1
	v_add_lshl_u32 v7, v1, v4, 1
	v_mov_b32_e32 v1, 0
	s_sub_i32 s3, 0, s0
	s_lshl_b32 s13, s6, 4
	s_branch .LBB1_3
.LBB1_2:                                ;   in Loop: Header=BB1_3 Depth=1
	s_or_b32 exec_lo, exec_lo, s0
	s_add_i32 s15, s15, s6
	s_add_i32 s12, s12, s13
	s_cmp_lt_u32 s15, s7
	s_cbranch_scc0 .LBB1_7
.LBB1_3:                                ; =>This Inner Loop Header: Depth=1
	s_mul_hi_u32 s0, s10, s15
	s_waitcnt lgkmcnt(0)
	s_add_i32 s0, s15, s0
	s_waitcnt_vscnt null, 0x0
	s_barrier
	s_lshr_b32 s0, s0, s11
	buffer_gl0_inv
	s_mul_hi_u32 s14, s0, s8
	s_delay_alu instid0(SALU_CYCLE_1) | instskip(NEXT) | instid1(SALU_CYCLE_1)
	s_add_i32 s14, s0, s14
	s_lshr_b32 s14, s14, s9
	s_delay_alu instid0(SALU_CYCLE_1) | instskip(NEXT) | instid1(SALU_CYCLE_1)
	s_mul_i32 s20, s14, s1
	s_sub_i32 s20, s0, s20
	s_delay_alu instid0(SALU_CYCLE_1) | instskip(SKIP_3) | instid1(VALU_DEP_2)
	s_lshl_b32 s21, s20, 4
	s_mul_i32 s20, s3, s0
	v_or_b32_e32 v0, s21, v4
	v_add3_u32 v2, s20, s12, v5
	v_cmp_gt_u32_e32 vcc_lo, s4, v0
	s_delay_alu instid0(VALU_DEP_2) | instskip(NEXT) | instid1(VALU_DEP_1)
	v_cmp_gt_u32_e64 s0, s5, v2
	s_and_b32 s22, vcc_lo, s0
	s_delay_alu instid0(SALU_CYCLE_1)
	s_and_saveexec_b32 s0, s22
	s_cbranch_execz .LBB1_5
; %bb.4:                                ;   in Loop: Header=BB1_3 Depth=1
	v_mad_u64_u32 v[8:9], null, s14, s4, v[0:1]
	v_mov_b32_e32 v3, v1
	s_delay_alu instid0(VALU_DEP_1) | instskip(NEXT) | instid1(VALU_DEP_3)
	v_lshlrev_b64 v[2:3], 1, v[2:3]
	v_mad_u64_u32 v[10:11], null, v8, s2, 0
	s_delay_alu instid0(VALU_DEP_1) | instskip(NEXT) | instid1(VALU_DEP_1)
	v_mov_b32_e32 v0, v11
	v_mad_u64_u32 v[11:12], null, v9, s2, v[0:1]
	s_delay_alu instid0(VALU_DEP_1) | instskip(NEXT) | instid1(VALU_DEP_1)
	v_lshlrev_b64 v[8:9], 1, v[10:11]
	v_add_co_u32 v0, vcc_lo, s18, v8
	s_delay_alu instid0(VALU_DEP_2) | instskip(NEXT) | instid1(VALU_DEP_2)
	v_add_co_ci_u32_e32 v8, vcc_lo, s19, v9, vcc_lo
	v_add_co_u32 v2, vcc_lo, v0, v2
	s_delay_alu instid0(VALU_DEP_2)
	v_add_co_ci_u32_e32 v3, vcc_lo, v8, v3, vcc_lo
	global_load_u16 v0, v[2:3], off
	s_waitcnt vmcnt(0)
	ds_store_b16 v6, v0
.LBB1_5:                                ;   in Loop: Header=BB1_3 Depth=1
	s_or_b32 exec_lo, exec_lo, s0
	v_or_b32_e32 v2, s21, v5
	v_add3_u32 v0, s20, s12, v4
	s_waitcnt lgkmcnt(0)
	s_barrier
	buffer_gl0_inv
	v_cmp_gt_u32_e32 vcc_lo, s4, v2
	v_cmp_gt_u32_e64 s0, s5, v0
	s_delay_alu instid0(VALU_DEP_1) | instskip(NEXT) | instid1(SALU_CYCLE_1)
	s_and_b32 s20, s0, vcc_lo
	s_and_saveexec_b32 s0, s20
	s_cbranch_execz .LBB1_2
; %bb.6:                                ;   in Loop: Header=BB1_3 Depth=1
	v_mad_u64_u32 v[8:9], null, s14, s2, v[0:1]
	v_mov_b32_e32 v3, v1
	s_delay_alu instid0(VALU_DEP_1) | instskip(NEXT) | instid1(VALU_DEP_3)
	v_lshlrev_b64 v[2:3], 1, v[2:3]
	v_mad_u64_u32 v[10:11], null, v8, s4, 0
	s_delay_alu instid0(VALU_DEP_1) | instskip(NEXT) | instid1(VALU_DEP_1)
	v_mov_b32_e32 v0, v11
	v_mad_u64_u32 v[11:12], null, v9, s4, v[0:1]
	ds_load_u16 v0, v7
	v_lshlrev_b64 v[8:9], 1, v[10:11]
	s_delay_alu instid0(VALU_DEP_1) | instskip(NEXT) | instid1(VALU_DEP_2)
	v_add_co_u32 v8, vcc_lo, s16, v8
	v_add_co_ci_u32_e32 v9, vcc_lo, s17, v9, vcc_lo
	s_delay_alu instid0(VALU_DEP_2) | instskip(NEXT) | instid1(VALU_DEP_2)
	v_add_co_u32 v2, vcc_lo, v8, v2
	v_add_co_ci_u32_e32 v3, vcc_lo, v9, v3, vcc_lo
	s_waitcnt lgkmcnt(0)
	global_store_b16 v[2:3], v0, off
	s_branch .LBB1_2
.LBB1_7:
	s_nop 0
	s_sendmsg sendmsg(MSG_DEALLOC_VGPRS)
	s_endpgm
	.section	.rodata,"a",@progbits
	.p2align	6, 0x0
	.amdhsa_kernel batched_transpose_16x16_half
		.amdhsa_group_segment_fixed_size 576
		.amdhsa_private_segment_fixed_size 0
		.amdhsa_kernarg_size 48
		.amdhsa_user_sgpr_count 15
		.amdhsa_user_sgpr_dispatch_ptr 0
		.amdhsa_user_sgpr_queue_ptr 0
		.amdhsa_user_sgpr_kernarg_segment_ptr 1
		.amdhsa_user_sgpr_dispatch_id 0
		.amdhsa_user_sgpr_private_segment_size 0
		.amdhsa_wavefront_size32 1
		.amdhsa_uses_dynamic_stack 0
		.amdhsa_enable_private_segment 0
		.amdhsa_system_sgpr_workgroup_id_x 1
		.amdhsa_system_sgpr_workgroup_id_y 0
		.amdhsa_system_sgpr_workgroup_id_z 0
		.amdhsa_system_sgpr_workgroup_info 0
		.amdhsa_system_vgpr_workitem_id 0
		.amdhsa_next_free_vgpr 13
		.amdhsa_next_free_sgpr 23
		.amdhsa_reserve_vcc 1
		.amdhsa_float_round_mode_32 0
		.amdhsa_float_round_mode_16_64 0
		.amdhsa_float_denorm_mode_32 3
		.amdhsa_float_denorm_mode_16_64 3
		.amdhsa_dx10_clamp 1
		.amdhsa_ieee_mode 1
		.amdhsa_fp16_overflow 0
		.amdhsa_workgroup_processor_mode 1
		.amdhsa_memory_ordered 1
		.amdhsa_forward_progress 0
		.amdhsa_shared_vgpr_count 0
		.amdhsa_exception_fp_ieee_invalid_op 0
		.amdhsa_exception_fp_denorm_src 0
		.amdhsa_exception_fp_ieee_div_zero 0
		.amdhsa_exception_fp_ieee_overflow 0
		.amdhsa_exception_fp_ieee_underflow 0
		.amdhsa_exception_fp_ieee_inexact 0
		.amdhsa_exception_int_div_zero 0
	.end_amdhsa_kernel
	.text
.Lfunc_end1:
	.size	batched_transpose_16x16_half, .Lfunc_end1-batched_transpose_16x16_half
                                        ; -- End function
	.section	.AMDGPU.csdata,"",@progbits
; Kernel info:
; codeLenInByte = 532
; NumSgprs: 25
; NumVgprs: 13
; ScratchSize: 0
; MemoryBound: 0
; FloatMode: 240
; IeeeMode: 1
; LDSByteSize: 576 bytes/workgroup (compile time only)
; SGPRBlocks: 3
; VGPRBlocks: 1
; NumSGPRsForWavesPerEU: 25
; NumVGPRsForWavesPerEU: 13
; Occupancy: 16
; WaveLimiterHint : 0
; COMPUTE_PGM_RSRC2:SCRATCH_EN: 0
; COMPUTE_PGM_RSRC2:USER_SGPR: 15
; COMPUTE_PGM_RSRC2:TRAP_HANDLER: 0
; COMPUTE_PGM_RSRC2:TGID_X_EN: 1
; COMPUTE_PGM_RSRC2:TGID_Y_EN: 0
; COMPUTE_PGM_RSRC2:TGID_Z_EN: 0
; COMPUTE_PGM_RSRC2:TIDIG_COMP_CNT: 0
	.text
	.protected	batched_transpose_16x16_byte ; -- Begin function batched_transpose_16x16_byte
	.globl	batched_transpose_16x16_byte
	.p2align	8
	.type	batched_transpose_16x16_byte,@function
batched_transpose_16x16_byte:           ; @batched_transpose_16x16_byte
; %bb.0:
	s_load_b256 s[4:11], s[0:1], 0x10
	s_waitcnt lgkmcnt(0)
	s_cmp_ge_u32 s15, s7
	s_cbranch_scc1 .LBB2_7
; %bb.1:
	s_load_b128 s[16:19], s[0:1], 0x0
	v_dual_mov_b32 v1, 0 :: v_dual_and_b32 v2, 15, v0
	v_lshrrev_b32_e32 v3, 4, v0
	s_add_i32 s0, s4, 15
	s_mov_b32 s2, s5
	s_lshr_b32 s1, s0, 4
	s_add_i32 s0, s5, 15
	v_mad_u32_u24 v4, v3, 20, v2
	v_mad_u32_u24 v5, v2, 20, v3
	s_and_b32 s0, s0, -16
	s_lshl_b32 s12, s15, 4
	s_sub_i32 s3, 0, s0
	s_lshl_b32 s13, s6, 4
	s_branch .LBB2_3
.LBB2_2:                                ;   in Loop: Header=BB2_3 Depth=1
	s_or_b32 exec_lo, exec_lo, s0
	s_add_i32 s15, s15, s6
	s_add_i32 s12, s12, s13
	s_cmp_lt_u32 s15, s7
	s_cbranch_scc0 .LBB2_7
.LBB2_3:                                ; =>This Inner Loop Header: Depth=1
	s_mul_hi_u32 s0, s10, s15
	s_waitcnt lgkmcnt(0)
	s_add_i32 s0, s15, s0
	s_waitcnt_vscnt null, 0x0
	s_barrier
	s_lshr_b32 s0, s0, s11
	buffer_gl0_inv
	s_mul_hi_u32 s14, s0, s8
	s_delay_alu instid0(SALU_CYCLE_1) | instskip(NEXT) | instid1(SALU_CYCLE_1)
	s_add_i32 s14, s0, s14
	s_lshr_b32 s14, s14, s9
	s_delay_alu instid0(SALU_CYCLE_1) | instskip(NEXT) | instid1(SALU_CYCLE_1)
	s_mul_i32 s20, s14, s1
	s_sub_i32 s20, s0, s20
	s_delay_alu instid0(SALU_CYCLE_1) | instskip(SKIP_3) | instid1(VALU_DEP_2)
	s_lshl_b32 s21, s20, 4
	s_mul_i32 s20, s3, s0
	v_or_b32_e32 v0, s21, v3
	v_add3_u32 v6, s20, s12, v2
	v_cmp_gt_u32_e32 vcc_lo, s4, v0
	s_delay_alu instid0(VALU_DEP_2) | instskip(NEXT) | instid1(VALU_DEP_1)
	v_cmp_gt_u32_e64 s0, s5, v6
	s_and_b32 s22, vcc_lo, s0
	s_delay_alu instid0(SALU_CYCLE_1)
	s_and_saveexec_b32 s0, s22
	s_cbranch_execz .LBB2_5
; %bb.4:                                ;   in Loop: Header=BB2_3 Depth=1
	v_mad_u64_u32 v[7:8], null, s14, s4, v[0:1]
	s_delay_alu instid0(VALU_DEP_1) | instskip(NEXT) | instid1(VALU_DEP_1)
	v_mad_u64_u32 v[9:10], null, v7, s2, s[18:19]
	v_mov_b32_e32 v0, v10
	s_delay_alu instid0(VALU_DEP_2) | instskip(NEXT) | instid1(VALU_DEP_2)
	v_add_co_u32 v6, vcc_lo, v9, v6
	v_mad_u64_u32 v[10:11], null, v8, s2, v[0:1]
	s_delay_alu instid0(VALU_DEP_1) | instskip(NEXT) | instid1(VALU_DEP_1)
	v_mov_b32_e32 v0, v10
	v_add_co_ci_u32_e32 v7, vcc_lo, 0, v0, vcc_lo
	global_load_u8 v0, v[6:7], off
	s_waitcnt vmcnt(0)
	ds_store_b8 v4, v0
.LBB2_5:                                ;   in Loop: Header=BB2_3 Depth=1
	s_or_b32 exec_lo, exec_lo, s0
	v_or_b32_e32 v6, s21, v2
	v_add3_u32 v0, s20, s12, v3
	s_waitcnt lgkmcnt(0)
	s_barrier
	buffer_gl0_inv
	v_cmp_gt_u32_e32 vcc_lo, s4, v6
	v_cmp_gt_u32_e64 s0, s5, v0
	s_delay_alu instid0(VALU_DEP_1) | instskip(NEXT) | instid1(SALU_CYCLE_1)
	s_and_b32 s20, s0, vcc_lo
	s_and_saveexec_b32 s0, s20
	s_cbranch_execz .LBB2_2
; %bb.6:                                ;   in Loop: Header=BB2_3 Depth=1
	v_mad_u64_u32 v[7:8], null, s14, s2, v[0:1]
	ds_load_u8 v12, v5
	v_mad_u64_u32 v[9:10], null, v7, s4, s[16:17]
	s_delay_alu instid0(VALU_DEP_1) | instskip(NEXT) | instid1(VALU_DEP_2)
	v_mov_b32_e32 v0, v10
	v_add_co_u32 v6, vcc_lo, v9, v6
	s_delay_alu instid0(VALU_DEP_2) | instskip(NEXT) | instid1(VALU_DEP_1)
	v_mad_u64_u32 v[10:11], null, v8, s4, v[0:1]
	v_mov_b32_e32 v0, v10
	s_delay_alu instid0(VALU_DEP_1)
	v_add_co_ci_u32_e32 v7, vcc_lo, 0, v0, vcc_lo
	s_waitcnt lgkmcnt(0)
	global_store_b8 v[6:7], v12, off
	s_branch .LBB2_2
.LBB2_7:
	s_nop 0
	s_sendmsg sendmsg(MSG_DEALLOC_VGPRS)
	s_endpgm
	.section	.rodata,"a",@progbits
	.p2align	6, 0x0
	.amdhsa_kernel batched_transpose_16x16_byte
		.amdhsa_group_segment_fixed_size 320
		.amdhsa_private_segment_fixed_size 0
		.amdhsa_kernarg_size 48
		.amdhsa_user_sgpr_count 15
		.amdhsa_user_sgpr_dispatch_ptr 0
		.amdhsa_user_sgpr_queue_ptr 0
		.amdhsa_user_sgpr_kernarg_segment_ptr 1
		.amdhsa_user_sgpr_dispatch_id 0
		.amdhsa_user_sgpr_private_segment_size 0
		.amdhsa_wavefront_size32 1
		.amdhsa_uses_dynamic_stack 0
		.amdhsa_enable_private_segment 0
		.amdhsa_system_sgpr_workgroup_id_x 1
		.amdhsa_system_sgpr_workgroup_id_y 0
		.amdhsa_system_sgpr_workgroup_id_z 0
		.amdhsa_system_sgpr_workgroup_info 0
		.amdhsa_system_vgpr_workitem_id 0
		.amdhsa_next_free_vgpr 13
		.amdhsa_next_free_sgpr 23
		.amdhsa_reserve_vcc 1
		.amdhsa_float_round_mode_32 0
		.amdhsa_float_round_mode_16_64 0
		.amdhsa_float_denorm_mode_32 3
		.amdhsa_float_denorm_mode_16_64 3
		.amdhsa_dx10_clamp 1
		.amdhsa_ieee_mode 1
		.amdhsa_fp16_overflow 0
		.amdhsa_workgroup_processor_mode 1
		.amdhsa_memory_ordered 1
		.amdhsa_forward_progress 0
		.amdhsa_shared_vgpr_count 0
		.amdhsa_exception_fp_ieee_invalid_op 0
		.amdhsa_exception_fp_denorm_src 0
		.amdhsa_exception_fp_ieee_div_zero 0
		.amdhsa_exception_fp_ieee_overflow 0
		.amdhsa_exception_fp_ieee_underflow 0
		.amdhsa_exception_fp_ieee_inexact 0
		.amdhsa_exception_int_div_zero 0
	.end_amdhsa_kernel
	.text
.Lfunc_end2:
	.size	batched_transpose_16x16_byte, .Lfunc_end2-batched_transpose_16x16_byte
                                        ; -- End function
	.section	.AMDGPU.csdata,"",@progbits
; Kernel info:
; codeLenInByte = 456
; NumSgprs: 25
; NumVgprs: 13
; ScratchSize: 0
; MemoryBound: 0
; FloatMode: 240
; IeeeMode: 1
; LDSByteSize: 320 bytes/workgroup (compile time only)
; SGPRBlocks: 3
; VGPRBlocks: 1
; NumSGPRsForWavesPerEU: 25
; NumVGPRsForWavesPerEU: 13
; Occupancy: 16
; WaveLimiterHint : 0
; COMPUTE_PGM_RSRC2:SCRATCH_EN: 0
; COMPUTE_PGM_RSRC2:USER_SGPR: 15
; COMPUTE_PGM_RSRC2:TRAP_HANDLER: 0
; COMPUTE_PGM_RSRC2:TGID_X_EN: 1
; COMPUTE_PGM_RSRC2:TGID_Y_EN: 0
; COMPUTE_PGM_RSRC2:TGID_Z_EN: 0
; COMPUTE_PGM_RSRC2:TIDIG_COMP_CNT: 0
	.text
	.protected	batched_transpose_32x16_dword ; -- Begin function batched_transpose_32x16_dword
	.globl	batched_transpose_32x16_dword
	.p2align	8
	.type	batched_transpose_32x16_dword,@function
batched_transpose_32x16_dword:          ; @batched_transpose_32x16_dword
; %bb.0:
	s_load_b256 s[4:11], s[0:1], 0x10
	s_waitcnt lgkmcnt(0)
	s_cmp_ge_u32 s15, s7
	s_cbranch_scc1 .LBB3_11
; %bb.1:
	s_load_b128 s[16:19], s[0:1], 0x0
	v_lshrrev_b32_e32 v5, 4, v0
	v_dual_mov_b32 v1, 0 :: v_dual_and_b32 v6, 15, v0
	s_mov_b32 s13, 0
	s_lshl_b32 s12, s4, 4
	s_add_i32 s0, s4, 15
	v_mul_u32_u24_e32 v0, 17, v5
	v_mul_u32_u24_e32 v2, 17, v6
	s_lshl_b64 s[12:13], s[12:13], 2
	s_add_i32 s20, s5, 31
	s_lshr_b32 s2, s0, 4
	v_add_lshl_u32 v7, v0, v6, 2
	v_add_lshl_u32 v8, v2, v5, 2
	s_mov_b32 s1, s5
                                        ; implicit-def: $vgpr9
                                        ; implicit-def: $vgpr10
	s_waitcnt lgkmcnt(0)
	s_add_u32 s3, s16, s12
	s_addc_u32 s12, s17, s13
	s_add_u32 s13, s18, 64
	s_addc_u32 s14, s19, 0
	s_and_b32 s0, s20, 0xffffffe0
	s_lshl_b32 s20, s15, 5
	s_sub_i32 s21, 0, s0
	s_lshl_b32 s22, s6, 5
	s_branch .LBB3_3
.LBB3_2:                                ;   in Loop: Header=BB3_3 Depth=1
	s_or_b32 exec_lo, exec_lo, s0
	s_add_i32 s15, s15, s6
	s_add_i32 s20, s20, s22
	s_cmp_lt_u32 s15, s7
	s_cbranch_scc0 .LBB3_11
.LBB3_3:                                ; =>This Inner Loop Header: Depth=1
	s_mul_hi_u32 s0, s10, s15
	v_mov_b32_e32 v3, v1
	s_add_i32 s0, s15, s0
	s_delay_alu instid0(SALU_CYCLE_1)
	s_lshr_b32 s0, s0, s11
	s_waitcnt lgkmcnt(0)
	s_waitcnt_vscnt null, 0x0
	s_barrier
	s_mul_hi_u32 s23, s0, s8
	s_mul_i32 s25, s21, s0
	s_add_i32 s23, s0, s23
	v_add3_u32 v2, s25, s20, v6
	s_lshr_b32 s23, s23, s9
	buffer_gl0_inv
	s_mul_i32 s24, s23, s2
	s_delay_alu instid0(SALU_CYCLE_1) | instskip(SKIP_2) | instid1(SALU_CYCLE_1)
	s_sub_i32 s24, s0, s24
	v_cmp_gt_u32_e64 s0, s5, v2
	s_lshl_b32 s24, s24, 4
	v_or_b32_e32 v0, s24, v5
	s_delay_alu instid0(VALU_DEP_1) | instskip(SKIP_2) | instid1(VALU_DEP_2)
	v_mad_u64_u32 v[11:12], null, s23, s4, v[0:1]
	v_cmp_gt_u32_e32 vcc_lo, s4, v0
	s_and_b32 s0, vcc_lo, s0
	v_mad_u64_u32 v[13:14], null, v11, s1, v[2:3]
	s_delay_alu instid0(VALU_DEP_1) | instskip(NEXT) | instid1(VALU_DEP_1)
	v_mov_b32_e32 v3, v14
	v_mad_u64_u32 v[14:15], null, v12, s1, v[3:4]
	s_delay_alu instid0(VALU_DEP_1)
	v_lshlrev_b64 v[3:4], 2, v[13:14]
	s_and_saveexec_b32 s26, s0
	s_cbranch_execz .LBB3_5
; %bb.4:                                ;   in Loop: Header=BB3_3 Depth=1
	s_delay_alu instid0(VALU_DEP_1) | instskip(NEXT) | instid1(VALU_DEP_1)
	v_add_co_u32 v10, s0, s18, v3
	v_add_co_ci_u32_e64 v11, s0, s19, v4, s0
	global_load_b32 v10, v[10:11], off
.LBB3_5:                                ;   in Loop: Header=BB3_3 Depth=1
	s_or_b32 exec_lo, exec_lo, s26
	v_add_nc_u32_e32 v0, 16, v2
	s_delay_alu instid0(VALU_DEP_1) | instskip(NEXT) | instid1(VALU_DEP_1)
	v_cmp_gt_u32_e64 s0, s5, v0
	s_and_b32 s26, vcc_lo, s0
	s_delay_alu instid0(SALU_CYCLE_1)
	s_and_saveexec_b32 s0, s26
	s_cbranch_execz .LBB3_7
; %bb.6:                                ;   in Loop: Header=BB3_3 Depth=1
	v_add_co_u32 v2, vcc_lo, s13, v3
	v_add_co_ci_u32_e32 v3, vcc_lo, s14, v4, vcc_lo
	global_load_b32 v9, v[2:3], off
.LBB3_7:                                ;   in Loop: Header=BB3_3 Depth=1
	s_or_b32 exec_lo, exec_lo, s0
	v_add3_u32 v0, s25, s20, v5
	v_or_b32_e32 v11, s24, v6
	v_mov_b32_e32 v12, v1
	s_waitcnt vmcnt(0)
	ds_store_b32 v7, v10
	ds_store_b32 v7, v9 offset:1088
	s_waitcnt lgkmcnt(0)
	v_mad_u64_u32 v[2:3], null, s23, s1, v[0:1]
	s_barrier
	buffer_gl0_inv
	ds_load_b32 v4, v8 offset:1088
	v_cmp_gt_u32_e32 vcc_lo, s4, v11
	v_cmp_gt_u32_e64 s0, s5, v0
	v_mad_u64_u32 v[13:14], null, v2, s4, v[11:12]
	s_delay_alu instid0(VALU_DEP_2) | instskip(NEXT) | instid1(VALU_DEP_1)
	s_and_b32 s0, s0, vcc_lo
	v_mov_b32_e32 v2, v14
	s_delay_alu instid0(VALU_DEP_1) | instskip(NEXT) | instid1(VALU_DEP_1)
	v_mad_u64_u32 v[14:15], null, v3, s4, v[2:3]
	v_lshlrev_b64 v[2:3], 2, v[13:14]
	s_and_saveexec_b32 s23, s0
	s_cbranch_execz .LBB3_9
; %bb.8:                                ;   in Loop: Header=BB3_3 Depth=1
	ds_load_b32 v13, v8
	v_add_co_u32 v11, s0, s16, v2
	s_delay_alu instid0(VALU_DEP_1)
	v_add_co_ci_u32_e64 v12, s0, s17, v3, s0
	s_waitcnt lgkmcnt(0)
	global_store_b32 v[11:12], v13, off
.LBB3_9:                                ;   in Loop: Header=BB3_3 Depth=1
	s_or_b32 exec_lo, exec_lo, s23
	v_add_nc_u32_e32 v0, 16, v0
	s_delay_alu instid0(VALU_DEP_1) | instskip(NEXT) | instid1(VALU_DEP_1)
	v_cmp_gt_u32_e64 s0, s5, v0
	s_and_b32 s23, s0, vcc_lo
	s_delay_alu instid0(SALU_CYCLE_1)
	s_and_saveexec_b32 s0, s23
	s_cbranch_execz .LBB3_2
; %bb.10:                               ;   in Loop: Header=BB3_3 Depth=1
	v_add_co_u32 v2, vcc_lo, s3, v2
	v_add_co_ci_u32_e32 v3, vcc_lo, s12, v3, vcc_lo
	s_waitcnt lgkmcnt(0)
	global_store_b32 v[2:3], v4, off
	s_branch .LBB3_2
.LBB3_11:
	s_nop 0
	s_sendmsg sendmsg(MSG_DEALLOC_VGPRS)
	s_endpgm
	.section	.rodata,"a",@progbits
	.p2align	6, 0x0
	.amdhsa_kernel batched_transpose_32x16_dword
		.amdhsa_group_segment_fixed_size 2176
		.amdhsa_private_segment_fixed_size 0
		.amdhsa_kernarg_size 48
		.amdhsa_user_sgpr_count 15
		.amdhsa_user_sgpr_dispatch_ptr 0
		.amdhsa_user_sgpr_queue_ptr 0
		.amdhsa_user_sgpr_kernarg_segment_ptr 1
		.amdhsa_user_sgpr_dispatch_id 0
		.amdhsa_user_sgpr_private_segment_size 0
		.amdhsa_wavefront_size32 1
		.amdhsa_uses_dynamic_stack 0
		.amdhsa_enable_private_segment 0
		.amdhsa_system_sgpr_workgroup_id_x 1
		.amdhsa_system_sgpr_workgroup_id_y 0
		.amdhsa_system_sgpr_workgroup_id_z 0
		.amdhsa_system_sgpr_workgroup_info 0
		.amdhsa_system_vgpr_workitem_id 0
		.amdhsa_next_free_vgpr 16
		.amdhsa_next_free_sgpr 27
		.amdhsa_reserve_vcc 1
		.amdhsa_float_round_mode_32 0
		.amdhsa_float_round_mode_16_64 0
		.amdhsa_float_denorm_mode_32 3
		.amdhsa_float_denorm_mode_16_64 3
		.amdhsa_dx10_clamp 1
		.amdhsa_ieee_mode 1
		.amdhsa_fp16_overflow 0
		.amdhsa_workgroup_processor_mode 1
		.amdhsa_memory_ordered 1
		.amdhsa_forward_progress 0
		.amdhsa_shared_vgpr_count 0
		.amdhsa_exception_fp_ieee_invalid_op 0
		.amdhsa_exception_fp_denorm_src 0
		.amdhsa_exception_fp_ieee_div_zero 0
		.amdhsa_exception_fp_ieee_overflow 0
		.amdhsa_exception_fp_ieee_underflow 0
		.amdhsa_exception_fp_ieee_inexact 0
		.amdhsa_exception_int_div_zero 0
	.end_amdhsa_kernel
	.text
.Lfunc_end3:
	.size	batched_transpose_32x16_dword, .Lfunc_end3-batched_transpose_32x16_dword
                                        ; -- End function
	.section	.AMDGPU.csdata,"",@progbits
; Kernel info:
; codeLenInByte = 644
; NumSgprs: 29
; NumVgprs: 16
; ScratchSize: 0
; MemoryBound: 0
; FloatMode: 240
; IeeeMode: 1
; LDSByteSize: 2176 bytes/workgroup (compile time only)
; SGPRBlocks: 3
; VGPRBlocks: 1
; NumSGPRsForWavesPerEU: 29
; NumVGPRsForWavesPerEU: 16
; Occupancy: 16
; WaveLimiterHint : 0
; COMPUTE_PGM_RSRC2:SCRATCH_EN: 0
; COMPUTE_PGM_RSRC2:USER_SGPR: 15
; COMPUTE_PGM_RSRC2:TRAP_HANDLER: 0
; COMPUTE_PGM_RSRC2:TGID_X_EN: 1
; COMPUTE_PGM_RSRC2:TGID_Y_EN: 0
; COMPUTE_PGM_RSRC2:TGID_Z_EN: 0
; COMPUTE_PGM_RSRC2:TIDIG_COMP_CNT: 0
	.text
	.protected	batched_transpose_32x16_half ; -- Begin function batched_transpose_32x16_half
	.globl	batched_transpose_32x16_half
	.p2align	8
	.type	batched_transpose_32x16_half,@function
batched_transpose_32x16_half:           ; @batched_transpose_32x16_half
; %bb.0:
	s_load_b256 s[4:11], s[0:1], 0x10
	s_waitcnt lgkmcnt(0)
	s_cmp_ge_u32 s15, s7
	s_cbranch_scc1 .LBB4_11
; %bb.1:
	s_load_b128 s[16:19], s[0:1], 0x0
	v_lshrrev_b32_e32 v5, 4, v0
	v_dual_mov_b32 v1, 0 :: v_dual_and_b32 v6, 15, v0
	s_mov_b32 s13, 0
	s_lshl_b32 s12, s4, 4
	s_add_i32 s0, s4, 15
	v_mul_u32_u24_e32 v0, 18, v5
	v_mul_u32_u24_e32 v2, 18, v6
	s_lshl_b64 s[12:13], s[12:13], 1
	s_add_i32 s20, s5, 31
	s_lshr_b32 s2, s0, 4
	v_add_lshl_u32 v7, v0, v6, 1
	v_add_lshl_u32 v8, v2, v5, 1
	s_mov_b32 s1, s5
                                        ; implicit-def: $vgpr9
                                        ; implicit-def: $vgpr10
	s_waitcnt lgkmcnt(0)
	s_add_u32 s3, s16, s12
	s_addc_u32 s12, s17, s13
	s_add_u32 s13, s18, 32
	s_addc_u32 s14, s19, 0
	s_and_b32 s0, s20, 0xffffffe0
	s_lshl_b32 s20, s15, 5
	s_sub_i32 s21, 0, s0
	s_lshl_b32 s22, s6, 5
	s_branch .LBB4_3
.LBB4_2:                                ;   in Loop: Header=BB4_3 Depth=1
	s_or_b32 exec_lo, exec_lo, s0
	s_add_i32 s15, s15, s6
	s_add_i32 s20, s20, s22
	s_cmp_lt_u32 s15, s7
	s_cbranch_scc0 .LBB4_11
.LBB4_3:                                ; =>This Inner Loop Header: Depth=1
	s_mul_hi_u32 s0, s10, s15
	v_mov_b32_e32 v3, v1
	s_add_i32 s0, s15, s0
	s_delay_alu instid0(SALU_CYCLE_1)
	s_lshr_b32 s0, s0, s11
	s_waitcnt lgkmcnt(0)
	s_waitcnt_vscnt null, 0x0
	s_barrier
	s_mul_hi_u32 s23, s0, s8
	s_mul_i32 s25, s21, s0
	s_add_i32 s23, s0, s23
	v_add3_u32 v2, s25, s20, v6
	s_lshr_b32 s23, s23, s9
	buffer_gl0_inv
	s_mul_i32 s24, s23, s2
	s_delay_alu instid0(SALU_CYCLE_1) | instskip(SKIP_2) | instid1(SALU_CYCLE_1)
	s_sub_i32 s24, s0, s24
	v_cmp_gt_u32_e64 s0, s5, v2
	s_lshl_b32 s24, s24, 4
	v_or_b32_e32 v0, s24, v5
	s_delay_alu instid0(VALU_DEP_1) | instskip(SKIP_2) | instid1(VALU_DEP_2)
	v_mad_u64_u32 v[11:12], null, s23, s4, v[0:1]
	v_cmp_gt_u32_e32 vcc_lo, s4, v0
	s_and_b32 s0, vcc_lo, s0
	v_mad_u64_u32 v[13:14], null, v11, s1, v[2:3]
	s_delay_alu instid0(VALU_DEP_1) | instskip(NEXT) | instid1(VALU_DEP_1)
	v_mov_b32_e32 v3, v14
	v_mad_u64_u32 v[14:15], null, v12, s1, v[3:4]
	s_delay_alu instid0(VALU_DEP_1)
	v_lshlrev_b64 v[3:4], 1, v[13:14]
	s_and_saveexec_b32 s26, s0
	s_cbranch_execz .LBB4_5
; %bb.4:                                ;   in Loop: Header=BB4_3 Depth=1
	s_delay_alu instid0(VALU_DEP_1) | instskip(NEXT) | instid1(VALU_DEP_1)
	v_add_co_u32 v10, s0, s18, v3
	v_add_co_ci_u32_e64 v11, s0, s19, v4, s0
	global_load_u16 v10, v[10:11], off
.LBB4_5:                                ;   in Loop: Header=BB4_3 Depth=1
	s_or_b32 exec_lo, exec_lo, s26
	v_add_nc_u32_e32 v0, 16, v2
	s_delay_alu instid0(VALU_DEP_1) | instskip(NEXT) | instid1(VALU_DEP_1)
	v_cmp_gt_u32_e64 s0, s5, v0
	s_and_b32 s26, vcc_lo, s0
	s_delay_alu instid0(SALU_CYCLE_1)
	s_and_saveexec_b32 s0, s26
	s_cbranch_execz .LBB4_7
; %bb.6:                                ;   in Loop: Header=BB4_3 Depth=1
	v_add_co_u32 v2, vcc_lo, s13, v3
	v_add_co_ci_u32_e32 v3, vcc_lo, s14, v4, vcc_lo
	global_load_u16 v9, v[2:3], off
.LBB4_7:                                ;   in Loop: Header=BB4_3 Depth=1
	s_or_b32 exec_lo, exec_lo, s0
	v_add3_u32 v0, s25, s20, v5
	v_or_b32_e32 v11, s24, v6
	v_mov_b32_e32 v12, v1
	s_waitcnt vmcnt(0)
	ds_store_b16 v7, v10
	ds_store_b16 v7, v9 offset:576
	s_waitcnt lgkmcnt(0)
	v_mad_u64_u32 v[2:3], null, s23, s1, v[0:1]
	s_barrier
	buffer_gl0_inv
	ds_load_u16 v4, v8 offset:576
	v_cmp_gt_u32_e32 vcc_lo, s4, v11
	v_cmp_gt_u32_e64 s0, s5, v0
	v_mad_u64_u32 v[13:14], null, v2, s4, v[11:12]
	s_delay_alu instid0(VALU_DEP_2) | instskip(NEXT) | instid1(VALU_DEP_1)
	s_and_b32 s0, s0, vcc_lo
	v_mov_b32_e32 v2, v14
	s_delay_alu instid0(VALU_DEP_1) | instskip(NEXT) | instid1(VALU_DEP_1)
	v_mad_u64_u32 v[14:15], null, v3, s4, v[2:3]
	v_lshlrev_b64 v[2:3], 1, v[13:14]
	s_and_saveexec_b32 s23, s0
	s_cbranch_execz .LBB4_9
; %bb.8:                                ;   in Loop: Header=BB4_3 Depth=1
	ds_load_u16 v13, v8
	v_add_co_u32 v11, s0, s16, v2
	s_delay_alu instid0(VALU_DEP_1)
	v_add_co_ci_u32_e64 v12, s0, s17, v3, s0
	s_waitcnt lgkmcnt(0)
	global_store_b16 v[11:12], v13, off
.LBB4_9:                                ;   in Loop: Header=BB4_3 Depth=1
	s_or_b32 exec_lo, exec_lo, s23
	v_add_nc_u32_e32 v0, 16, v0
	s_delay_alu instid0(VALU_DEP_1) | instskip(NEXT) | instid1(VALU_DEP_1)
	v_cmp_gt_u32_e64 s0, s5, v0
	s_and_b32 s23, s0, vcc_lo
	s_delay_alu instid0(SALU_CYCLE_1)
	s_and_saveexec_b32 s0, s23
	s_cbranch_execz .LBB4_2
; %bb.10:                               ;   in Loop: Header=BB4_3 Depth=1
	v_add_co_u32 v2, vcc_lo, s3, v2
	v_add_co_ci_u32_e32 v3, vcc_lo, s12, v3, vcc_lo
	s_waitcnt lgkmcnt(0)
	global_store_b16 v[2:3], v4, off
	s_branch .LBB4_2
.LBB4_11:
	s_nop 0
	s_sendmsg sendmsg(MSG_DEALLOC_VGPRS)
	s_endpgm
	.section	.rodata,"a",@progbits
	.p2align	6, 0x0
	.amdhsa_kernel batched_transpose_32x16_half
		.amdhsa_group_segment_fixed_size 1152
		.amdhsa_private_segment_fixed_size 0
		.amdhsa_kernarg_size 48
		.amdhsa_user_sgpr_count 15
		.amdhsa_user_sgpr_dispatch_ptr 0
		.amdhsa_user_sgpr_queue_ptr 0
		.amdhsa_user_sgpr_kernarg_segment_ptr 1
		.amdhsa_user_sgpr_dispatch_id 0
		.amdhsa_user_sgpr_private_segment_size 0
		.amdhsa_wavefront_size32 1
		.amdhsa_uses_dynamic_stack 0
		.amdhsa_enable_private_segment 0
		.amdhsa_system_sgpr_workgroup_id_x 1
		.amdhsa_system_sgpr_workgroup_id_y 0
		.amdhsa_system_sgpr_workgroup_id_z 0
		.amdhsa_system_sgpr_workgroup_info 0
		.amdhsa_system_vgpr_workitem_id 0
		.amdhsa_next_free_vgpr 16
		.amdhsa_next_free_sgpr 27
		.amdhsa_reserve_vcc 1
		.amdhsa_float_round_mode_32 0
		.amdhsa_float_round_mode_16_64 0
		.amdhsa_float_denorm_mode_32 3
		.amdhsa_float_denorm_mode_16_64 3
		.amdhsa_dx10_clamp 1
		.amdhsa_ieee_mode 1
		.amdhsa_fp16_overflow 0
		.amdhsa_workgroup_processor_mode 1
		.amdhsa_memory_ordered 1
		.amdhsa_forward_progress 0
		.amdhsa_shared_vgpr_count 0
		.amdhsa_exception_fp_ieee_invalid_op 0
		.amdhsa_exception_fp_denorm_src 0
		.amdhsa_exception_fp_ieee_div_zero 0
		.amdhsa_exception_fp_ieee_overflow 0
		.amdhsa_exception_fp_ieee_underflow 0
		.amdhsa_exception_fp_ieee_inexact 0
		.amdhsa_exception_int_div_zero 0
	.end_amdhsa_kernel
	.text
.Lfunc_end4:
	.size	batched_transpose_32x16_half, .Lfunc_end4-batched_transpose_32x16_half
                                        ; -- End function
	.section	.AMDGPU.csdata,"",@progbits
; Kernel info:
; codeLenInByte = 644
; NumSgprs: 29
; NumVgprs: 16
; ScratchSize: 0
; MemoryBound: 0
; FloatMode: 240
; IeeeMode: 1
; LDSByteSize: 1152 bytes/workgroup (compile time only)
; SGPRBlocks: 3
; VGPRBlocks: 1
; NumSGPRsForWavesPerEU: 29
; NumVGPRsForWavesPerEU: 16
; Occupancy: 16
; WaveLimiterHint : 0
; COMPUTE_PGM_RSRC2:SCRATCH_EN: 0
; COMPUTE_PGM_RSRC2:USER_SGPR: 15
; COMPUTE_PGM_RSRC2:TRAP_HANDLER: 0
; COMPUTE_PGM_RSRC2:TGID_X_EN: 1
; COMPUTE_PGM_RSRC2:TGID_Y_EN: 0
; COMPUTE_PGM_RSRC2:TGID_Z_EN: 0
; COMPUTE_PGM_RSRC2:TIDIG_COMP_CNT: 0
	.text
	.protected	batched_transpose_32x16_byte ; -- Begin function batched_transpose_32x16_byte
	.globl	batched_transpose_32x16_byte
	.p2align	8
	.type	batched_transpose_32x16_byte,@function
batched_transpose_32x16_byte:           ; @batched_transpose_32x16_byte
; %bb.0:
	s_load_b256 s[4:11], s[0:1], 0x10
	s_waitcnt lgkmcnt(0)
	s_cmp_ge_u32 s15, s7
	s_cbranch_scc1 .LBB5_11
; %bb.1:
	s_load_b128 s[16:19], s[0:1], 0x0
	s_add_i32 s0, s4, 15
	v_dual_mov_b32 v1, 0 :: v_dual_and_b32 v6, 15, v0
	v_lshrrev_b32_e32 v7, 4, v0
	s_lshl_b32 s3, s4, 4
	s_add_i32 s20, s5, 31
	s_lshr_b32 s2, s0, 4
	s_mov_b32 s1, s5
	v_mad_u32_u24 v8, v7, 20, v6
	v_mad_u32_u24 v9, v6, 20, v7
                                        ; implicit-def: $vgpr10
                                        ; implicit-def: $vgpr11
	s_waitcnt lgkmcnt(0)
	s_add_u32 s3, s16, s3
	s_addc_u32 s12, s17, 0
	s_add_u32 s13, s18, 16
	s_addc_u32 s14, s19, 0
	s_and_b32 s0, s20, 0xffffffe0
	s_lshl_b32 s20, s15, 5
	s_sub_i32 s21, 0, s0
	s_lshl_b32 s22, s6, 5
	s_branch .LBB5_3
.LBB5_2:                                ;   in Loop: Header=BB5_3 Depth=1
	s_or_b32 exec_lo, exec_lo, s0
	s_add_i32 s15, s15, s6
	s_add_i32 s20, s20, s22
	s_cmp_lt_u32 s15, s7
	s_cbranch_scc0 .LBB5_11
.LBB5_3:                                ; =>This Inner Loop Header: Depth=1
	s_mul_hi_u32 s0, s10, s15
	v_mov_b32_e32 v5, v1
	s_add_i32 s0, s15, s0
	s_delay_alu instid0(SALU_CYCLE_1)
	s_lshr_b32 s0, s0, s11
	s_waitcnt_vscnt null, 0x0
	s_barrier
	s_mul_hi_u32 s23, s0, s8
	s_mul_i32 s25, s21, s0
	s_add_i32 s23, s0, s23
	v_add3_u32 v4, s25, s20, v6
	s_lshr_b32 s23, s23, s9
	buffer_gl0_inv
	s_mul_i32 s24, s23, s2
	s_delay_alu instid0(SALU_CYCLE_1) | instskip(SKIP_2) | instid1(SALU_CYCLE_1)
	s_sub_i32 s24, s0, s24
	v_cmp_gt_u32_e64 s0, s5, v4
	s_lshl_b32 s24, s24, 4
	v_or_b32_e32 v0, s24, v7
	s_delay_alu instid0(VALU_DEP_1) | instskip(SKIP_2) | instid1(VALU_DEP_2)
	v_mad_u64_u32 v[12:13], null, s23, s4, v[0:1]
	v_cmp_gt_u32_e32 vcc_lo, s4, v0
	s_and_b32 s0, vcc_lo, s0
	v_mad_u64_u32 v[2:3], null, v12, s1, v[4:5]
	s_delay_alu instid0(VALU_DEP_1) | instskip(NEXT) | instid1(VALU_DEP_1)
	v_mad_u64_u32 v[14:15], null, v13, s1, v[3:4]
	v_mov_b32_e32 v0, v14
	s_and_saveexec_b32 s26, s0
	s_cbranch_execz .LBB5_5
; %bb.4:                                ;   in Loop: Header=BB5_3 Depth=1
	s_delay_alu instid0(VALU_DEP_3) | instskip(NEXT) | instid1(VALU_DEP_1)
	v_add_co_u32 v11, s0, s18, v2
	v_add_co_ci_u32_e64 v12, s0, s19, v0, s0
	global_load_u8 v11, v[11:12], off
.LBB5_5:                                ;   in Loop: Header=BB5_3 Depth=1
	s_or_b32 exec_lo, exec_lo, s26
	v_add_nc_u32_e32 v3, 16, v4
	s_delay_alu instid0(VALU_DEP_1) | instskip(NEXT) | instid1(VALU_DEP_1)
	v_cmp_gt_u32_e64 s0, s5, v3
	s_and_b32 s26, vcc_lo, s0
	s_delay_alu instid0(SALU_CYCLE_1)
	s_and_saveexec_b32 s0, s26
	s_cbranch_execz .LBB5_7
; %bb.6:                                ;   in Loop: Header=BB5_3 Depth=1
	v_add_co_u32 v2, vcc_lo, s13, v2
	v_add_co_ci_u32_e32 v3, vcc_lo, s14, v0, vcc_lo
	global_load_u8 v10, v[2:3], off
.LBB5_7:                                ;   in Loop: Header=BB5_3 Depth=1
	s_or_b32 exec_lo, exec_lo, s0
	v_add3_u32 v0, s25, s20, v7
	v_or_b32_e32 v12, s24, v6
	v_mov_b32_e32 v13, v1
	s_waitcnt vmcnt(0)
	ds_store_b8 v8, v11
	ds_store_b8 v8, v10 offset:320
	s_waitcnt lgkmcnt(0)
	v_mad_u64_u32 v[4:5], null, s23, s1, v[0:1]
	s_barrier
	buffer_gl0_inv
	v_cmp_gt_u32_e32 vcc_lo, s4, v12
	v_cmp_gt_u32_e64 s0, s5, v0
	v_mad_u64_u32 v[2:3], null, v4, s4, v[12:13]
	ds_load_u8 v4, v9 offset:320
	s_and_b32 s0, s0, vcc_lo
	s_waitcnt lgkmcnt(0)
	v_mad_u64_u32 v[13:14], null, v5, s4, v[3:4]
	s_delay_alu instid0(VALU_DEP_1)
	v_mov_b32_e32 v3, v13
	s_and_saveexec_b32 s23, s0
	s_cbranch_execz .LBB5_9
; %bb.8:                                ;   in Loop: Header=BB5_3 Depth=1
	ds_load_u8 v5, v9
	v_add_co_u32 v12, s0, s16, v2
	s_delay_alu instid0(VALU_DEP_1)
	v_add_co_ci_u32_e64 v13, s0, s17, v3, s0
	s_waitcnt lgkmcnt(0)
	global_store_b8 v[12:13], v5, off
.LBB5_9:                                ;   in Loop: Header=BB5_3 Depth=1
	s_or_b32 exec_lo, exec_lo, s23
	v_add_nc_u32_e32 v0, 16, v0
	s_delay_alu instid0(VALU_DEP_1) | instskip(NEXT) | instid1(VALU_DEP_1)
	v_cmp_gt_u32_e64 s0, s5, v0
	s_and_b32 s23, s0, vcc_lo
	s_delay_alu instid0(SALU_CYCLE_1)
	s_and_saveexec_b32 s0, s23
	s_cbranch_execz .LBB5_2
; %bb.10:                               ;   in Loop: Header=BB5_3 Depth=1
	v_add_co_u32 v2, vcc_lo, s3, v2
	v_add_co_ci_u32_e32 v3, vcc_lo, s12, v3, vcc_lo
	global_store_b8 v[2:3], v4, off
	s_branch .LBB5_2
.LBB5_11:
	s_nop 0
	s_sendmsg sendmsg(MSG_DEALLOC_VGPRS)
	s_endpgm
	.section	.rodata,"a",@progbits
	.p2align	6, 0x0
	.amdhsa_kernel batched_transpose_32x16_byte
		.amdhsa_group_segment_fixed_size 640
		.amdhsa_private_segment_fixed_size 0
		.amdhsa_kernarg_size 48
		.amdhsa_user_sgpr_count 15
		.amdhsa_user_sgpr_dispatch_ptr 0
		.amdhsa_user_sgpr_queue_ptr 0
		.amdhsa_user_sgpr_kernarg_segment_ptr 1
		.amdhsa_user_sgpr_dispatch_id 0
		.amdhsa_user_sgpr_private_segment_size 0
		.amdhsa_wavefront_size32 1
		.amdhsa_uses_dynamic_stack 0
		.amdhsa_enable_private_segment 0
		.amdhsa_system_sgpr_workgroup_id_x 1
		.amdhsa_system_sgpr_workgroup_id_y 0
		.amdhsa_system_sgpr_workgroup_id_z 0
		.amdhsa_system_sgpr_workgroup_info 0
		.amdhsa_system_vgpr_workitem_id 0
		.amdhsa_next_free_vgpr 16
		.amdhsa_next_free_sgpr 27
		.amdhsa_reserve_vcc 1
		.amdhsa_float_round_mode_32 0
		.amdhsa_float_round_mode_16_64 0
		.amdhsa_float_denorm_mode_32 3
		.amdhsa_float_denorm_mode_16_64 3
		.amdhsa_dx10_clamp 1
		.amdhsa_ieee_mode 1
		.amdhsa_fp16_overflow 0
		.amdhsa_workgroup_processor_mode 1
		.amdhsa_memory_ordered 1
		.amdhsa_forward_progress 0
		.amdhsa_shared_vgpr_count 0
		.amdhsa_exception_fp_ieee_invalid_op 0
		.amdhsa_exception_fp_denorm_src 0
		.amdhsa_exception_fp_ieee_div_zero 0
		.amdhsa_exception_fp_ieee_overflow 0
		.amdhsa_exception_fp_ieee_underflow 0
		.amdhsa_exception_fp_ieee_inexact 0
		.amdhsa_exception_int_div_zero 0
	.end_amdhsa_kernel
	.text
.Lfunc_end5:
	.size	batched_transpose_32x16_byte, .Lfunc_end5-batched_transpose_32x16_byte
                                        ; -- End function
	.section	.AMDGPU.csdata,"",@progbits
; Kernel info:
; codeLenInByte = 600
; NumSgprs: 29
; NumVgprs: 16
; ScratchSize: 0
; MemoryBound: 0
; FloatMode: 240
; IeeeMode: 1
; LDSByteSize: 640 bytes/workgroup (compile time only)
; SGPRBlocks: 3
; VGPRBlocks: 1
; NumSGPRsForWavesPerEU: 29
; NumVGPRsForWavesPerEU: 16
; Occupancy: 16
; WaveLimiterHint : 0
; COMPUTE_PGM_RSRC2:SCRATCH_EN: 0
; COMPUTE_PGM_RSRC2:USER_SGPR: 15
; COMPUTE_PGM_RSRC2:TRAP_HANDLER: 0
; COMPUTE_PGM_RSRC2:TGID_X_EN: 1
; COMPUTE_PGM_RSRC2:TGID_Y_EN: 0
; COMPUTE_PGM_RSRC2:TGID_Z_EN: 0
; COMPUTE_PGM_RSRC2:TIDIG_COMP_CNT: 0
	.text
	.protected	batched_transpose_16x32_dword ; -- Begin function batched_transpose_16x32_dword
	.globl	batched_transpose_16x32_dword
	.p2align	8
	.type	batched_transpose_16x32_dword,@function
batched_transpose_16x32_dword:          ; @batched_transpose_16x32_dword
; %bb.0:
	s_load_b256 s[4:11], s[0:1], 0x10
	s_waitcnt lgkmcnt(0)
	s_cmp_ge_u32 s15, s7
	s_cbranch_scc1 .LBB6_11
; %bb.1:
	s_load_b128 s[16:19], s[0:1], 0x0
	v_lshrrev_b32_e32 v5, 4, v0
	v_dual_mov_b32 v1, 0 :: v_dual_and_b32 v6, 15, v0
	s_mov_b32 s13, 0
	s_lshl_b32 s12, s5, 4
	s_add_i32 s0, s4, 31
	v_mul_u32_u24_e32 v0, 17, v5
	v_mul_u32_u24_e32 v2, 17, v6
	s_lshl_b64 s[12:13], s[12:13], 2
	s_add_i32 s20, s5, 15
	s_lshr_b32 s2, s0, 5
	v_add_lshl_u32 v7, v0, v6, 2
	v_add_lshl_u32 v8, v2, v5, 2
	s_mov_b32 s1, s5
                                        ; implicit-def: $vgpr9
                                        ; implicit-def: $vgpr10
	s_waitcnt lgkmcnt(0)
	s_add_u32 s3, s18, s12
	s_addc_u32 s12, s19, s13
	s_add_u32 s13, s16, 64
	s_addc_u32 s14, s17, 0
	s_and_b32 s0, s20, -16
	s_lshl_b32 s20, s15, 4
	s_sub_i32 s21, 0, s0
	s_lshl_b32 s22, s6, 4
	s_branch .LBB6_3
.LBB6_2:                                ;   in Loop: Header=BB6_3 Depth=1
	s_or_b32 exec_lo, exec_lo, s0
	s_add_i32 s15, s15, s6
	s_add_i32 s20, s20, s22
	s_cmp_lt_u32 s15, s7
	s_cbranch_scc0 .LBB6_11
.LBB6_3:                                ; =>This Inner Loop Header: Depth=1
	s_mul_hi_u32 s0, s10, s15
	v_mov_b32_e32 v12, v1
	s_add_i32 s0, s15, s0
	s_delay_alu instid0(SALU_CYCLE_1)
	s_lshr_b32 s0, s0, s11
	s_waitcnt lgkmcnt(0)
	s_waitcnt_vscnt null, 0x0
	s_barrier
	s_mul_hi_u32 s23, s0, s8
	s_mul_i32 s25, s21, s0
	s_add_i32 s23, s0, s23
	v_add3_u32 v11, s25, s20, v6
	s_lshr_b32 s23, s23, s9
	buffer_gl0_inv
	s_mul_i32 s24, s23, s2
	v_cmp_gt_u32_e32 vcc_lo, s5, v11
	s_sub_i32 s24, s0, s24
	s_delay_alu instid0(SALU_CYCLE_1) | instskip(NEXT) | instid1(SALU_CYCLE_1)
	s_lshl_b32 s24, s24, 5
	v_or_b32_e32 v0, s24, v5
	s_delay_alu instid0(VALU_DEP_1) | instskip(SKIP_1) | instid1(VALU_DEP_1)
	v_mad_u64_u32 v[2:3], null, s23, s4, v[0:1]
	v_cmp_gt_u32_e64 s0, s4, v0
	s_and_b32 s0, s0, vcc_lo
	s_delay_alu instid0(VALU_DEP_2) | instskip(NEXT) | instid1(VALU_DEP_1)
	v_mad_u64_u32 v[13:14], null, v2, s1, v[11:12]
	v_mov_b32_e32 v2, v14
	s_delay_alu instid0(VALU_DEP_1) | instskip(NEXT) | instid1(VALU_DEP_1)
	v_mad_u64_u32 v[14:15], null, v3, s1, v[2:3]
	v_lshlrev_b64 v[2:3], 2, v[13:14]
	s_and_saveexec_b32 s26, s0
	s_cbranch_execz .LBB6_5
; %bb.4:                                ;   in Loop: Header=BB6_3 Depth=1
	s_delay_alu instid0(VALU_DEP_1) | instskip(NEXT) | instid1(VALU_DEP_1)
	v_add_co_u32 v10, s0, s18, v2
	v_add_co_ci_u32_e64 v11, s0, s19, v3, s0
	global_load_b32 v10, v[10:11], off
.LBB6_5:                                ;   in Loop: Header=BB6_3 Depth=1
	s_or_b32 exec_lo, exec_lo, s26
	v_add_nc_u32_e32 v0, 16, v0
	s_delay_alu instid0(VALU_DEP_1) | instskip(NEXT) | instid1(VALU_DEP_1)
	v_cmp_gt_u32_e64 s0, s4, v0
	s_and_b32 s26, s0, vcc_lo
	s_delay_alu instid0(SALU_CYCLE_1)
	s_and_saveexec_b32 s0, s26
	s_cbranch_execz .LBB6_7
; %bb.6:                                ;   in Loop: Header=BB6_3 Depth=1
	v_add_co_u32 v2, vcc_lo, s3, v2
	v_add_co_ci_u32_e32 v3, vcc_lo, s12, v3, vcc_lo
	global_load_b32 v9, v[2:3], off
.LBB6_7:                                ;   in Loop: Header=BB6_3 Depth=1
	s_or_b32 exec_lo, exec_lo, s0
	v_add3_u32 v0, s25, s20, v5
	v_or_b32_e32 v2, s24, v6
	v_mov_b32_e32 v3, v1
	s_waitcnt vmcnt(0)
	ds_store_b32 v7, v10
	ds_store_b32 v7, v9 offset:1088
	s_waitcnt lgkmcnt(0)
	v_mad_u64_u32 v[11:12], null, s23, s1, v[0:1]
	s_barrier
	buffer_gl0_inv
	v_cmp_gt_u32_e64 s0, s4, v2
	v_cmp_gt_u32_e32 vcc_lo, s5, v0
	v_mad_u64_u32 v[13:14], null, v11, s4, v[2:3]
	ds_load_b32 v11, v8 offset:1088
	s_and_b32 s0, vcc_lo, s0
	v_mov_b32_e32 v3, v14
	s_delay_alu instid0(VALU_DEP_1) | instskip(NEXT) | instid1(VALU_DEP_1)
	v_mad_u64_u32 v[14:15], null, v12, s4, v[3:4]
	v_lshlrev_b64 v[3:4], 2, v[13:14]
	s_and_saveexec_b32 s23, s0
	s_cbranch_execz .LBB6_9
; %bb.8:                                ;   in Loop: Header=BB6_3 Depth=1
	ds_load_b32 v0, v8
	v_add_co_u32 v12, s0, s16, v3
	s_delay_alu instid0(VALU_DEP_1)
	v_add_co_ci_u32_e64 v13, s0, s17, v4, s0
	s_waitcnt lgkmcnt(0)
	global_store_b32 v[12:13], v0, off
.LBB6_9:                                ;   in Loop: Header=BB6_3 Depth=1
	s_or_b32 exec_lo, exec_lo, s23
	v_or_b32_e32 v0, 16, v2
	s_delay_alu instid0(VALU_DEP_1) | instskip(NEXT) | instid1(VALU_DEP_1)
	v_cmp_gt_u32_e64 s0, s4, v0
	s_and_b32 s23, vcc_lo, s0
	s_delay_alu instid0(SALU_CYCLE_1)
	s_and_saveexec_b32 s0, s23
	s_cbranch_execz .LBB6_2
; %bb.10:                               ;   in Loop: Header=BB6_3 Depth=1
	v_add_co_u32 v2, vcc_lo, s13, v3
	v_add_co_ci_u32_e32 v3, vcc_lo, s14, v4, vcc_lo
	s_waitcnt lgkmcnt(0)
	global_store_b32 v[2:3], v11, off
	s_branch .LBB6_2
.LBB6_11:
	s_nop 0
	s_sendmsg sendmsg(MSG_DEALLOC_VGPRS)
	s_endpgm
	.section	.rodata,"a",@progbits
	.p2align	6, 0x0
	.amdhsa_kernel batched_transpose_16x32_dword
		.amdhsa_group_segment_fixed_size 2176
		.amdhsa_private_segment_fixed_size 0
		.amdhsa_kernarg_size 48
		.amdhsa_user_sgpr_count 15
		.amdhsa_user_sgpr_dispatch_ptr 0
		.amdhsa_user_sgpr_queue_ptr 0
		.amdhsa_user_sgpr_kernarg_segment_ptr 1
		.amdhsa_user_sgpr_dispatch_id 0
		.amdhsa_user_sgpr_private_segment_size 0
		.amdhsa_wavefront_size32 1
		.amdhsa_uses_dynamic_stack 0
		.amdhsa_enable_private_segment 0
		.amdhsa_system_sgpr_workgroup_id_x 1
		.amdhsa_system_sgpr_workgroup_id_y 0
		.amdhsa_system_sgpr_workgroup_id_z 0
		.amdhsa_system_sgpr_workgroup_info 0
		.amdhsa_system_vgpr_workitem_id 0
		.amdhsa_next_free_vgpr 16
		.amdhsa_next_free_sgpr 27
		.amdhsa_reserve_vcc 1
		.amdhsa_float_round_mode_32 0
		.amdhsa_float_round_mode_16_64 0
		.amdhsa_float_denorm_mode_32 3
		.amdhsa_float_denorm_mode_16_64 3
		.amdhsa_dx10_clamp 1
		.amdhsa_ieee_mode 1
		.amdhsa_fp16_overflow 0
		.amdhsa_workgroup_processor_mode 1
		.amdhsa_memory_ordered 1
		.amdhsa_forward_progress 0
		.amdhsa_shared_vgpr_count 0
		.amdhsa_exception_fp_ieee_invalid_op 0
		.amdhsa_exception_fp_denorm_src 0
		.amdhsa_exception_fp_ieee_div_zero 0
		.amdhsa_exception_fp_ieee_overflow 0
		.amdhsa_exception_fp_ieee_underflow 0
		.amdhsa_exception_fp_ieee_inexact 0
		.amdhsa_exception_int_div_zero 0
	.end_amdhsa_kernel
	.text
.Lfunc_end6:
	.size	batched_transpose_16x32_dword, .Lfunc_end6-batched_transpose_16x32_dword
                                        ; -- End function
	.section	.AMDGPU.csdata,"",@progbits
; Kernel info:
; codeLenInByte = 636
; NumSgprs: 29
; NumVgprs: 16
; ScratchSize: 0
; MemoryBound: 0
; FloatMode: 240
; IeeeMode: 1
; LDSByteSize: 2176 bytes/workgroup (compile time only)
; SGPRBlocks: 3
; VGPRBlocks: 1
; NumSGPRsForWavesPerEU: 29
; NumVGPRsForWavesPerEU: 16
; Occupancy: 16
; WaveLimiterHint : 0
; COMPUTE_PGM_RSRC2:SCRATCH_EN: 0
; COMPUTE_PGM_RSRC2:USER_SGPR: 15
; COMPUTE_PGM_RSRC2:TRAP_HANDLER: 0
; COMPUTE_PGM_RSRC2:TGID_X_EN: 1
; COMPUTE_PGM_RSRC2:TGID_Y_EN: 0
; COMPUTE_PGM_RSRC2:TGID_Z_EN: 0
; COMPUTE_PGM_RSRC2:TIDIG_COMP_CNT: 0
	.text
	.protected	batched_transpose_16x32_half ; -- Begin function batched_transpose_16x32_half
	.globl	batched_transpose_16x32_half
	.p2align	8
	.type	batched_transpose_16x32_half,@function
batched_transpose_16x32_half:           ; @batched_transpose_16x32_half
; %bb.0:
	s_load_b256 s[4:11], s[0:1], 0x10
	s_waitcnt lgkmcnt(0)
	s_cmp_ge_u32 s15, s7
	s_cbranch_scc1 .LBB7_11
; %bb.1:
	s_load_b128 s[16:19], s[0:1], 0x0
	v_lshrrev_b32_e32 v5, 4, v0
	v_dual_mov_b32 v1, 0 :: v_dual_and_b32 v6, 15, v0
	s_mov_b32 s13, 0
	s_lshl_b32 s12, s5, 4
	s_add_i32 s0, s4, 31
	v_mul_u32_u24_e32 v0, 18, v5
	v_mul_u32_u24_e32 v2, 18, v6
	s_lshl_b64 s[12:13], s[12:13], 1
	s_add_i32 s20, s5, 15
	s_lshr_b32 s2, s0, 5
	v_add_lshl_u32 v7, v0, v6, 1
	v_add_lshl_u32 v8, v2, v5, 1
	s_mov_b32 s1, s5
                                        ; implicit-def: $vgpr9
                                        ; implicit-def: $vgpr10
	s_waitcnt lgkmcnt(0)
	s_add_u32 s3, s18, s12
	s_addc_u32 s12, s19, s13
	s_add_u32 s13, s16, 32
	s_addc_u32 s14, s17, 0
	s_and_b32 s0, s20, -16
	s_lshl_b32 s20, s15, 4
	s_sub_i32 s21, 0, s0
	s_lshl_b32 s22, s6, 4
	s_branch .LBB7_3
.LBB7_2:                                ;   in Loop: Header=BB7_3 Depth=1
	s_or_b32 exec_lo, exec_lo, s0
	s_add_i32 s15, s15, s6
	s_add_i32 s20, s20, s22
	s_cmp_lt_u32 s15, s7
	s_cbranch_scc0 .LBB7_11
.LBB7_3:                                ; =>This Inner Loop Header: Depth=1
	s_mul_hi_u32 s0, s10, s15
	v_mov_b32_e32 v12, v1
	s_add_i32 s0, s15, s0
	s_delay_alu instid0(SALU_CYCLE_1)
	s_lshr_b32 s0, s0, s11
	s_waitcnt lgkmcnt(0)
	s_waitcnt_vscnt null, 0x0
	s_barrier
	s_mul_hi_u32 s23, s0, s8
	s_mul_i32 s25, s21, s0
	s_add_i32 s23, s0, s23
	v_add3_u32 v11, s25, s20, v6
	s_lshr_b32 s23, s23, s9
	buffer_gl0_inv
	s_mul_i32 s24, s23, s2
	v_cmp_gt_u32_e32 vcc_lo, s5, v11
	s_sub_i32 s24, s0, s24
	s_delay_alu instid0(SALU_CYCLE_1) | instskip(NEXT) | instid1(SALU_CYCLE_1)
	s_lshl_b32 s24, s24, 5
	v_or_b32_e32 v0, s24, v5
	s_delay_alu instid0(VALU_DEP_1) | instskip(SKIP_1) | instid1(VALU_DEP_1)
	v_mad_u64_u32 v[2:3], null, s23, s4, v[0:1]
	v_cmp_gt_u32_e64 s0, s4, v0
	s_and_b32 s0, s0, vcc_lo
	s_delay_alu instid0(VALU_DEP_2) | instskip(NEXT) | instid1(VALU_DEP_1)
	v_mad_u64_u32 v[13:14], null, v2, s1, v[11:12]
	v_mov_b32_e32 v2, v14
	s_delay_alu instid0(VALU_DEP_1) | instskip(NEXT) | instid1(VALU_DEP_1)
	v_mad_u64_u32 v[14:15], null, v3, s1, v[2:3]
	v_lshlrev_b64 v[2:3], 1, v[13:14]
	s_and_saveexec_b32 s26, s0
	s_cbranch_execz .LBB7_5
; %bb.4:                                ;   in Loop: Header=BB7_3 Depth=1
	s_delay_alu instid0(VALU_DEP_1) | instskip(NEXT) | instid1(VALU_DEP_1)
	v_add_co_u32 v10, s0, s18, v2
	v_add_co_ci_u32_e64 v11, s0, s19, v3, s0
	global_load_u16 v10, v[10:11], off
.LBB7_5:                                ;   in Loop: Header=BB7_3 Depth=1
	s_or_b32 exec_lo, exec_lo, s26
	v_add_nc_u32_e32 v0, 16, v0
	s_delay_alu instid0(VALU_DEP_1) | instskip(NEXT) | instid1(VALU_DEP_1)
	v_cmp_gt_u32_e64 s0, s4, v0
	s_and_b32 s26, s0, vcc_lo
	s_delay_alu instid0(SALU_CYCLE_1)
	s_and_saveexec_b32 s0, s26
	s_cbranch_execz .LBB7_7
; %bb.6:                                ;   in Loop: Header=BB7_3 Depth=1
	v_add_co_u32 v2, vcc_lo, s3, v2
	v_add_co_ci_u32_e32 v3, vcc_lo, s12, v3, vcc_lo
	global_load_u16 v9, v[2:3], off
.LBB7_7:                                ;   in Loop: Header=BB7_3 Depth=1
	s_or_b32 exec_lo, exec_lo, s0
	v_add3_u32 v0, s25, s20, v5
	v_or_b32_e32 v2, s24, v6
	v_mov_b32_e32 v3, v1
	s_waitcnt vmcnt(0)
	ds_store_b16 v7, v10
	ds_store_b16 v7, v9 offset:576
	s_waitcnt lgkmcnt(0)
	v_mad_u64_u32 v[11:12], null, s23, s1, v[0:1]
	s_barrier
	buffer_gl0_inv
	v_cmp_gt_u32_e64 s0, s4, v2
	v_cmp_gt_u32_e32 vcc_lo, s5, v0
	v_mad_u64_u32 v[13:14], null, v11, s4, v[2:3]
	ds_load_u16 v11, v8 offset:576
	s_and_b32 s0, vcc_lo, s0
	v_mov_b32_e32 v3, v14
	s_delay_alu instid0(VALU_DEP_1) | instskip(NEXT) | instid1(VALU_DEP_1)
	v_mad_u64_u32 v[14:15], null, v12, s4, v[3:4]
	v_lshlrev_b64 v[3:4], 1, v[13:14]
	s_and_saveexec_b32 s23, s0
	s_cbranch_execz .LBB7_9
; %bb.8:                                ;   in Loop: Header=BB7_3 Depth=1
	ds_load_u16 v0, v8
	v_add_co_u32 v12, s0, s16, v3
	s_delay_alu instid0(VALU_DEP_1)
	v_add_co_ci_u32_e64 v13, s0, s17, v4, s0
	s_waitcnt lgkmcnt(0)
	global_store_b16 v[12:13], v0, off
.LBB7_9:                                ;   in Loop: Header=BB7_3 Depth=1
	s_or_b32 exec_lo, exec_lo, s23
	v_or_b32_e32 v0, 16, v2
	s_delay_alu instid0(VALU_DEP_1) | instskip(NEXT) | instid1(VALU_DEP_1)
	v_cmp_gt_u32_e64 s0, s4, v0
	s_and_b32 s23, vcc_lo, s0
	s_delay_alu instid0(SALU_CYCLE_1)
	s_and_saveexec_b32 s0, s23
	s_cbranch_execz .LBB7_2
; %bb.10:                               ;   in Loop: Header=BB7_3 Depth=1
	v_add_co_u32 v2, vcc_lo, s13, v3
	v_add_co_ci_u32_e32 v3, vcc_lo, s14, v4, vcc_lo
	s_waitcnt lgkmcnt(0)
	global_store_b16 v[2:3], v11, off
	s_branch .LBB7_2
.LBB7_11:
	s_nop 0
	s_sendmsg sendmsg(MSG_DEALLOC_VGPRS)
	s_endpgm
	.section	.rodata,"a",@progbits
	.p2align	6, 0x0
	.amdhsa_kernel batched_transpose_16x32_half
		.amdhsa_group_segment_fixed_size 1152
		.amdhsa_private_segment_fixed_size 0
		.amdhsa_kernarg_size 48
		.amdhsa_user_sgpr_count 15
		.amdhsa_user_sgpr_dispatch_ptr 0
		.amdhsa_user_sgpr_queue_ptr 0
		.amdhsa_user_sgpr_kernarg_segment_ptr 1
		.amdhsa_user_sgpr_dispatch_id 0
		.amdhsa_user_sgpr_private_segment_size 0
		.amdhsa_wavefront_size32 1
		.amdhsa_uses_dynamic_stack 0
		.amdhsa_enable_private_segment 0
		.amdhsa_system_sgpr_workgroup_id_x 1
		.amdhsa_system_sgpr_workgroup_id_y 0
		.amdhsa_system_sgpr_workgroup_id_z 0
		.amdhsa_system_sgpr_workgroup_info 0
		.amdhsa_system_vgpr_workitem_id 0
		.amdhsa_next_free_vgpr 16
		.amdhsa_next_free_sgpr 27
		.amdhsa_reserve_vcc 1
		.amdhsa_float_round_mode_32 0
		.amdhsa_float_round_mode_16_64 0
		.amdhsa_float_denorm_mode_32 3
		.amdhsa_float_denorm_mode_16_64 3
		.amdhsa_dx10_clamp 1
		.amdhsa_ieee_mode 1
		.amdhsa_fp16_overflow 0
		.amdhsa_workgroup_processor_mode 1
		.amdhsa_memory_ordered 1
		.amdhsa_forward_progress 0
		.amdhsa_shared_vgpr_count 0
		.amdhsa_exception_fp_ieee_invalid_op 0
		.amdhsa_exception_fp_denorm_src 0
		.amdhsa_exception_fp_ieee_div_zero 0
		.amdhsa_exception_fp_ieee_overflow 0
		.amdhsa_exception_fp_ieee_underflow 0
		.amdhsa_exception_fp_ieee_inexact 0
		.amdhsa_exception_int_div_zero 0
	.end_amdhsa_kernel
	.text
.Lfunc_end7:
	.size	batched_transpose_16x32_half, .Lfunc_end7-batched_transpose_16x32_half
                                        ; -- End function
	.section	.AMDGPU.csdata,"",@progbits
; Kernel info:
; codeLenInByte = 636
; NumSgprs: 29
; NumVgprs: 16
; ScratchSize: 0
; MemoryBound: 0
; FloatMode: 240
; IeeeMode: 1
; LDSByteSize: 1152 bytes/workgroup (compile time only)
; SGPRBlocks: 3
; VGPRBlocks: 1
; NumSGPRsForWavesPerEU: 29
; NumVGPRsForWavesPerEU: 16
; Occupancy: 16
; WaveLimiterHint : 0
; COMPUTE_PGM_RSRC2:SCRATCH_EN: 0
; COMPUTE_PGM_RSRC2:USER_SGPR: 15
; COMPUTE_PGM_RSRC2:TRAP_HANDLER: 0
; COMPUTE_PGM_RSRC2:TGID_X_EN: 1
; COMPUTE_PGM_RSRC2:TGID_Y_EN: 0
; COMPUTE_PGM_RSRC2:TGID_Z_EN: 0
; COMPUTE_PGM_RSRC2:TIDIG_COMP_CNT: 0
	.text
	.protected	batched_transpose_16x32_byte ; -- Begin function batched_transpose_16x32_byte
	.globl	batched_transpose_16x32_byte
	.p2align	8
	.type	batched_transpose_16x32_byte,@function
batched_transpose_16x32_byte:           ; @batched_transpose_16x32_byte
; %bb.0:
	s_load_b256 s[4:11], s[0:1], 0x10
	s_waitcnt lgkmcnt(0)
	s_cmp_ge_u32 s15, s7
	s_cbranch_scc1 .LBB8_11
; %bb.1:
	s_load_b128 s[16:19], s[0:1], 0x0
	s_add_i32 s0, s4, 31
	v_dual_mov_b32 v1, 0 :: v_dual_and_b32 v6, 15, v0
	v_lshrrev_b32_e32 v7, 4, v0
	s_lshl_b32 s3, s5, 4
	s_add_i32 s20, s5, 15
	s_lshr_b32 s2, s0, 5
	s_mov_b32 s1, s5
	v_mad_u32_u24 v8, v7, 20, v6
	v_mad_u32_u24 v9, v6, 20, v7
                                        ; implicit-def: $vgpr10
                                        ; implicit-def: $vgpr11
	s_waitcnt lgkmcnt(0)
	s_add_u32 s3, s18, s3
	s_addc_u32 s12, s19, 0
	s_add_u32 s13, s16, 16
	s_addc_u32 s14, s17, 0
	s_and_b32 s0, s20, -16
	s_lshl_b32 s20, s15, 4
	s_sub_i32 s21, 0, s0
	s_lshl_b32 s22, s6, 4
	s_branch .LBB8_3
.LBB8_2:                                ;   in Loop: Header=BB8_3 Depth=1
	s_or_b32 exec_lo, exec_lo, s0
	s_add_i32 s15, s15, s6
	s_add_i32 s20, s20, s22
	s_cmp_lt_u32 s15, s7
	s_cbranch_scc0 .LBB8_11
.LBB8_3:                                ; =>This Inner Loop Header: Depth=1
	s_mul_hi_u32 s0, s10, s15
	v_mov_b32_e32 v13, v1
	s_add_i32 s0, s15, s0
	s_delay_alu instid0(SALU_CYCLE_1)
	s_lshr_b32 s0, s0, s11
	s_waitcnt lgkmcnt(0)
	s_waitcnt_vscnt null, 0x0
	s_barrier
	s_mul_hi_u32 s23, s0, s8
	s_mul_i32 s25, s21, s0
	s_add_i32 s23, s0, s23
	v_add3_u32 v12, s25, s20, v6
	s_lshr_b32 s23, s23, s9
	buffer_gl0_inv
	s_mul_i32 s24, s23, s2
	v_cmp_gt_u32_e32 vcc_lo, s5, v12
	s_sub_i32 s24, s0, s24
	s_delay_alu instid0(SALU_CYCLE_1) | instskip(NEXT) | instid1(SALU_CYCLE_1)
	s_lshl_b32 s24, s24, 5
	v_or_b32_e32 v0, s24, v7
	s_delay_alu instid0(VALU_DEP_1) | instskip(SKIP_1) | instid1(VALU_DEP_1)
	v_mad_u64_u32 v[4:5], null, s23, s4, v[0:1]
	v_cmp_gt_u32_e64 s0, s4, v0
	s_and_b32 s0, s0, vcc_lo
	s_delay_alu instid0(VALU_DEP_2) | instskip(NEXT) | instid1(VALU_DEP_1)
	v_mad_u64_u32 v[2:3], null, v4, s1, v[12:13]
	v_mad_u64_u32 v[13:14], null, v5, s1, v[3:4]
	s_delay_alu instid0(VALU_DEP_1)
	v_mov_b32_e32 v3, v13
	s_and_saveexec_b32 s26, s0
	s_cbranch_execz .LBB8_5
; %bb.4:                                ;   in Loop: Header=BB8_3 Depth=1
	s_delay_alu instid0(VALU_DEP_3) | instskip(NEXT) | instid1(VALU_DEP_1)
	v_add_co_u32 v4, s0, s18, v2
	v_add_co_ci_u32_e64 v5, s0, s19, v3, s0
	global_load_u8 v11, v[4:5], off
.LBB8_5:                                ;   in Loop: Header=BB8_3 Depth=1
	s_or_b32 exec_lo, exec_lo, s26
	v_add_nc_u32_e32 v0, 16, v0
	s_delay_alu instid0(VALU_DEP_1) | instskip(NEXT) | instid1(VALU_DEP_1)
	v_cmp_gt_u32_e64 s0, s4, v0
	s_and_b32 s26, s0, vcc_lo
	s_delay_alu instid0(SALU_CYCLE_1)
	s_and_saveexec_b32 s0, s26
	s_cbranch_execz .LBB8_7
; %bb.6:                                ;   in Loop: Header=BB8_3 Depth=1
	v_add_co_u32 v2, vcc_lo, s3, v2
	v_add_co_ci_u32_e32 v3, vcc_lo, s12, v3, vcc_lo
	global_load_u8 v10, v[2:3], off
.LBB8_7:                                ;   in Loop: Header=BB8_3 Depth=1
	s_or_b32 exec_lo, exec_lo, s0
	v_add3_u32 v0, s25, s20, v7
	v_or_b32_e32 v4, s24, v6
	v_mov_b32_e32 v5, v1
	s_waitcnt vmcnt(0)
	ds_store_b8 v8, v11
	ds_store_b8 v8, v10 offset:320
	s_waitcnt lgkmcnt(0)
	v_mad_u64_u32 v[12:13], null, s23, s1, v[0:1]
	s_barrier
	buffer_gl0_inv
	v_cmp_gt_u32_e64 s0, s4, v4
	v_cmp_gt_u32_e32 vcc_lo, s5, v0
	v_mad_u64_u32 v[2:3], null, v12, s4, v[4:5]
	ds_load_u8 v5, v9 offset:320
	s_and_b32 s0, vcc_lo, s0
	v_mad_u64_u32 v[14:15], null, v13, s4, v[3:4]
	s_delay_alu instid0(VALU_DEP_1)
	v_mov_b32_e32 v0, v14
	s_and_saveexec_b32 s23, s0
	s_cbranch_execz .LBB8_9
; %bb.8:                                ;   in Loop: Header=BB8_3 Depth=1
	ds_load_u8 v3, v9
	v_add_co_u32 v12, s0, s16, v2
	s_delay_alu instid0(VALU_DEP_1)
	v_add_co_ci_u32_e64 v13, s0, s17, v0, s0
	s_waitcnt lgkmcnt(0)
	global_store_b8 v[12:13], v3, off
.LBB8_9:                                ;   in Loop: Header=BB8_3 Depth=1
	s_or_b32 exec_lo, exec_lo, s23
	v_or_b32_e32 v3, 16, v4
	s_delay_alu instid0(VALU_DEP_1) | instskip(NEXT) | instid1(VALU_DEP_1)
	v_cmp_gt_u32_e64 s0, s4, v3
	s_and_b32 s23, vcc_lo, s0
	s_delay_alu instid0(SALU_CYCLE_1)
	s_and_saveexec_b32 s0, s23
	s_cbranch_execz .LBB8_2
; %bb.10:                               ;   in Loop: Header=BB8_3 Depth=1
	v_add_co_u32 v2, vcc_lo, s13, v2
	v_add_co_ci_u32_e32 v3, vcc_lo, s14, v0, vcc_lo
	s_waitcnt lgkmcnt(0)
	global_store_b8 v[2:3], v5, off
	s_branch .LBB8_2
.LBB8_11:
	s_nop 0
	s_sendmsg sendmsg(MSG_DEALLOC_VGPRS)
	s_endpgm
	.section	.rodata,"a",@progbits
	.p2align	6, 0x0
	.amdhsa_kernel batched_transpose_16x32_byte
		.amdhsa_group_segment_fixed_size 640
		.amdhsa_private_segment_fixed_size 0
		.amdhsa_kernarg_size 48
		.amdhsa_user_sgpr_count 15
		.amdhsa_user_sgpr_dispatch_ptr 0
		.amdhsa_user_sgpr_queue_ptr 0
		.amdhsa_user_sgpr_kernarg_segment_ptr 1
		.amdhsa_user_sgpr_dispatch_id 0
		.amdhsa_user_sgpr_private_segment_size 0
		.amdhsa_wavefront_size32 1
		.amdhsa_uses_dynamic_stack 0
		.amdhsa_enable_private_segment 0
		.amdhsa_system_sgpr_workgroup_id_x 1
		.amdhsa_system_sgpr_workgroup_id_y 0
		.amdhsa_system_sgpr_workgroup_id_z 0
		.amdhsa_system_sgpr_workgroup_info 0
		.amdhsa_system_vgpr_workitem_id 0
		.amdhsa_next_free_vgpr 16
		.amdhsa_next_free_sgpr 27
		.amdhsa_reserve_vcc 1
		.amdhsa_float_round_mode_32 0
		.amdhsa_float_round_mode_16_64 0
		.amdhsa_float_denorm_mode_32 3
		.amdhsa_float_denorm_mode_16_64 3
		.amdhsa_dx10_clamp 1
		.amdhsa_ieee_mode 1
		.amdhsa_fp16_overflow 0
		.amdhsa_workgroup_processor_mode 1
		.amdhsa_memory_ordered 1
		.amdhsa_forward_progress 0
		.amdhsa_shared_vgpr_count 0
		.amdhsa_exception_fp_ieee_invalid_op 0
		.amdhsa_exception_fp_denorm_src 0
		.amdhsa_exception_fp_ieee_div_zero 0
		.amdhsa_exception_fp_ieee_overflow 0
		.amdhsa_exception_fp_ieee_underflow 0
		.amdhsa_exception_fp_ieee_inexact 0
		.amdhsa_exception_int_div_zero 0
	.end_amdhsa_kernel
	.text
.Lfunc_end8:
	.size	batched_transpose_16x32_byte, .Lfunc_end8-batched_transpose_16x32_byte
                                        ; -- End function
	.section	.AMDGPU.csdata,"",@progbits
; Kernel info:
; codeLenInByte = 604
; NumSgprs: 29
; NumVgprs: 16
; ScratchSize: 0
; MemoryBound: 0
; FloatMode: 240
; IeeeMode: 1
; LDSByteSize: 640 bytes/workgroup (compile time only)
; SGPRBlocks: 3
; VGPRBlocks: 1
; NumSGPRsForWavesPerEU: 29
; NumVGPRsForWavesPerEU: 16
; Occupancy: 16
; WaveLimiterHint : 0
; COMPUTE_PGM_RSRC2:SCRATCH_EN: 0
; COMPUTE_PGM_RSRC2:USER_SGPR: 15
; COMPUTE_PGM_RSRC2:TRAP_HANDLER: 0
; COMPUTE_PGM_RSRC2:TGID_X_EN: 1
; COMPUTE_PGM_RSRC2:TGID_Y_EN: 0
; COMPUTE_PGM_RSRC2:TGID_Z_EN: 0
; COMPUTE_PGM_RSRC2:TIDIG_COMP_CNT: 0
	.text
	.protected	batched_transpose_32x32_dword ; -- Begin function batched_transpose_32x32_dword
	.globl	batched_transpose_32x32_dword
	.p2align	8
	.type	batched_transpose_32x32_dword,@function
batched_transpose_32x32_dword:          ; @batched_transpose_32x32_dword
; %bb.0:
	s_load_b256 s[4:11], s[0:1], 0x10
	s_waitcnt lgkmcnt(0)
	s_cmp_ge_u32 s15, s7
	s_cbranch_scc1 .LBB9_19
; %bb.1:
	s_load_b128 s[16:19], s[0:1], 0x0
	s_mov_b32 s1, 0
	s_lshl_b32 s0, s5, 4
	s_add_i32 s3, s4, 31
	s_lshl_b64 s[12:13], s[0:1], 2
	s_add_i32 s29, s5, 31
	s_lshr_b32 s3, s3, 5
	v_dual_mov_b32 v5, 0 :: v_dual_and_b32 v12, 15, v0
	v_lshrrev_b32_e32 v13, 4, v0
	s_mov_b32 s2, s5
                                        ; implicit-def: $vgpr3
	s_delay_alu instid0(VALU_DEP_2) | instskip(NEXT) | instid1(VALU_DEP_2)
	v_mul_u32_u24_e32 v1, 17, v12
	v_mul_u32_u24_e32 v0, 17, v13
	s_delay_alu instid0(VALU_DEP_2) | instskip(NEXT) | instid1(VALU_DEP_2)
	v_add_lshl_u32 v15, v1, v13, 4
	v_add_lshl_u32 v14, v0, v12, 4
	s_waitcnt lgkmcnt(0)
	s_add_u32 s12, s18, s12
	s_addc_u32 s13, s19, s13
	s_lshl_b32 s0, s4, 4
	s_delay_alu instid0(SALU_CYCLE_1) | instskip(NEXT) | instid1(SALU_CYCLE_1)
	s_lshl_b64 s[0:1], s[0:1], 2
	s_add_u32 s14, s16, s0
	s_addc_u32 s20, s17, s1
	s_add_u32 s21, s18, 64
	s_addc_u32 s22, s19, 0
	;; [unrolled: 2-line block ×5, first 2 shown]
	s_and_b32 s0, s29, 0xffffffe0
	s_lshl_b32 s29, s15, 5
	s_sub_i32 s30, 0, s0
	s_lshl_b32 s31, s6, 5
	s_branch .LBB9_3
.LBB9_2:                                ;   in Loop: Header=BB9_3 Depth=1
	s_or_b32 exec_lo, exec_lo, s0
	s_add_i32 s15, s15, s6
	s_add_i32 s29, s29, s31
	s_cmp_lt_u32 s15, s7
	s_cbranch_scc0 .LBB9_19
.LBB9_3:                                ; =>This Inner Loop Header: Depth=1
	s_mul_hi_u32 s0, s10, s15
	s_waitcnt lgkmcnt(1)
	v_mov_b32_e32 v9, v5
	s_add_i32 s0, s15, s0
	s_delay_alu instid0(SALU_CYCLE_1)
	s_lshr_b32 s0, s0, s11
	s_waitcnt lgkmcnt(0)
	s_waitcnt_vscnt null, 0x0
	s_barrier
	s_mul_hi_u32 s1, s0, s8
	s_mul_i32 s35, s30, s0
	s_add_i32 s1, s0, s1
	v_add3_u32 v8, s35, s29, v12
	s_lshr_b32 s33, s1, s9
	buffer_gl0_inv
	s_mul_i32 s1, s33, s3
	v_cmp_gt_u32_e32 vcc_lo, s5, v8
	s_sub_i32 s1, s0, s1
	s_delay_alu instid0(SALU_CYCLE_1) | instskip(NEXT) | instid1(SALU_CYCLE_1)
	s_lshl_b32 s34, s1, 5
	v_or_b32_e32 v4, s34, v13
	s_delay_alu instid0(VALU_DEP_1) | instskip(SKIP_1) | instid1(VALU_DEP_1)
	v_mad_u64_u32 v[6:7], null, s33, s4, v[4:5]
	v_cmp_gt_u32_e64 s1, s4, v4
	s_and_b32 s0, s1, vcc_lo
	s_delay_alu instid0(VALU_DEP_2) | instskip(NEXT) | instid1(VALU_DEP_1)
	v_mad_u64_u32 v[10:11], null, v6, s2, v[8:9]
	v_mov_b32_e32 v6, v11
	s_delay_alu instid0(VALU_DEP_1) | instskip(NEXT) | instid1(VALU_DEP_1)
	v_mad_u64_u32 v[16:17], null, v7, s2, v[6:7]
	v_mov_b32_e32 v11, v16
	s_delay_alu instid0(VALU_DEP_1)
	v_lshlrev_b64 v[6:7], 2, v[10:11]
	s_and_saveexec_b32 s36, s0
	s_cbranch_execz .LBB9_5
; %bb.4:                                ;   in Loop: Header=BB9_3 Depth=1
	s_delay_alu instid0(VALU_DEP_1) | instskip(NEXT) | instid1(VALU_DEP_1)
	v_add_co_u32 v9, s0, s18, v6
	v_add_co_ci_u32_e64 v10, s0, s19, v7, s0
	global_load_b32 v0, v[9:10], off
.LBB9_5:                                ;   in Loop: Header=BB9_3 Depth=1
	s_or_b32 exec_lo, exec_lo, s36
	v_add_nc_u32_e32 v8, 16, v8
	s_delay_alu instid0(VALU_DEP_1) | instskip(NEXT) | instid1(VALU_DEP_1)
	v_cmp_gt_u32_e64 s0, s5, v8
	s_and_b32 s1, s1, s0
	s_delay_alu instid0(SALU_CYCLE_1)
	s_and_saveexec_b32 s36, s1
	s_cbranch_execz .LBB9_7
; %bb.6:                                ;   in Loop: Header=BB9_3 Depth=1
	v_add_co_u32 v8, s1, s21, v6
	s_delay_alu instid0(VALU_DEP_1)
	v_add_co_ci_u32_e64 v9, s1, s22, v7, s1
	global_load_b32 v2, v[8:9], off
.LBB9_7:                                ;   in Loop: Header=BB9_3 Depth=1
	s_or_b32 exec_lo, exec_lo, s36
	v_add_nc_u32_e32 v4, 16, v4
	s_delay_alu instid0(VALU_DEP_1) | instskip(NEXT) | instid1(VALU_DEP_1)
	v_cmp_gt_u32_e64 s1, s4, v4
	s_and_b32 s37, s1, vcc_lo
	s_delay_alu instid0(SALU_CYCLE_1)
	s_and_saveexec_b32 s36, s37
	s_cbranch_execz .LBB9_9
; %bb.8:                                ;   in Loop: Header=BB9_3 Depth=1
	v_add_co_u32 v8, vcc_lo, s12, v6
	v_add_co_ci_u32_e32 v9, vcc_lo, s13, v7, vcc_lo
	global_load_b32 v1, v[8:9], off
.LBB9_9:                                ;   in Loop: Header=BB9_3 Depth=1
	s_or_b32 exec_lo, exec_lo, s36
	s_and_b32 s1, s1, s0
	s_delay_alu instid0(SALU_CYCLE_1)
	s_and_saveexec_b32 s0, s1
	s_cbranch_execz .LBB9_11
; %bb.10:                               ;   in Loop: Header=BB9_3 Depth=1
	v_add_co_u32 v3, vcc_lo, s23, v6
	v_add_co_ci_u32_e32 v4, vcc_lo, s24, v7, vcc_lo
	global_load_b32 v3, v[3:4], off
.LBB9_11:                               ;   in Loop: Header=BB9_3 Depth=1
	s_or_b32 exec_lo, exec_lo, s0
	v_add3_u32 v4, s35, s29, v13
	v_or_b32_e32 v10, s34, v12
	v_mov_b32_e32 v11, v5
	s_waitcnt vmcnt(0)
	ds_store_b128 v14, v[0:3]
	s_waitcnt lgkmcnt(0)
	v_mad_u64_u32 v[6:7], null, s33, s2, v[4:5]
	s_barrier
	buffer_gl0_inv
	v_cmp_gt_u32_e32 vcc_lo, s4, v10
	v_cmp_gt_u32_e64 s1, s5, v4
	v_mad_u64_u32 v[16:17], null, v6, s4, v[10:11]
	ds_load_2addr_b32 v[8:9], v15 offset0:1 offset1:2
	ds_load_b32 v11, v15 offset:12
	s_and_b32 s0, s1, vcc_lo
	v_mov_b32_e32 v6, v17
	s_delay_alu instid0(VALU_DEP_1) | instskip(NEXT) | instid1(VALU_DEP_1)
	v_mad_u64_u32 v[17:18], null, v7, s4, v[6:7]
	v_lshlrev_b64 v[6:7], 2, v[16:17]
	s_and_saveexec_b32 s33, s0
	s_cbranch_execz .LBB9_13
; %bb.12:                               ;   in Loop: Header=BB9_3 Depth=1
	ds_load_b32 v18, v15
	v_add_co_u32 v16, s0, s16, v6
	s_delay_alu instid0(VALU_DEP_1)
	v_add_co_ci_u32_e64 v17, s0, s17, v7, s0
	s_waitcnt lgkmcnt(0)
	global_store_b32 v[16:17], v18, off
.LBB9_13:                               ;   in Loop: Header=BB9_3 Depth=1
	s_or_b32 exec_lo, exec_lo, s33
	v_or_b32_e32 v10, 16, v10
	s_delay_alu instid0(VALU_DEP_1) | instskip(NEXT) | instid1(VALU_DEP_1)
	v_cmp_gt_u32_e64 s0, s4, v10
	s_and_b32 s1, s1, s0
	s_delay_alu instid0(SALU_CYCLE_1)
	s_and_saveexec_b32 s33, s1
	s_cbranch_execz .LBB9_15
; %bb.14:                               ;   in Loop: Header=BB9_3 Depth=1
	v_add_co_u32 v16, s1, s25, v6
	s_delay_alu instid0(VALU_DEP_1)
	v_add_co_ci_u32_e64 v17, s1, s26, v7, s1
	s_waitcnt lgkmcnt(1)
	global_store_b32 v[16:17], v8, off
.LBB9_15:                               ;   in Loop: Header=BB9_3 Depth=1
	s_or_b32 exec_lo, exec_lo, s33
	v_add_nc_u32_e32 v4, 16, v4
	s_delay_alu instid0(VALU_DEP_1) | instskip(NEXT) | instid1(VALU_DEP_1)
	v_cmp_gt_u32_e64 s1, s5, v4
	s_and_b32 s34, s1, vcc_lo
	s_delay_alu instid0(SALU_CYCLE_1)
	s_and_saveexec_b32 s33, s34
	s_cbranch_execz .LBB9_17
; %bb.16:                               ;   in Loop: Header=BB9_3 Depth=1
	v_add_co_u32 v16, vcc_lo, s14, v6
	v_add_co_ci_u32_e32 v17, vcc_lo, s20, v7, vcc_lo
	s_waitcnt lgkmcnt(1)
	global_store_b32 v[16:17], v9, off
.LBB9_17:                               ;   in Loop: Header=BB9_3 Depth=1
	s_or_b32 exec_lo, exec_lo, s33
	s_and_b32 s1, s1, s0
	s_delay_alu instid0(SALU_CYCLE_1)
	s_and_saveexec_b32 s0, s1
	s_cbranch_execz .LBB9_2
; %bb.18:                               ;   in Loop: Header=BB9_3 Depth=1
	v_add_co_u32 v6, vcc_lo, s27, v6
	v_add_co_ci_u32_e32 v7, vcc_lo, s28, v7, vcc_lo
	s_waitcnt lgkmcnt(0)
	global_store_b32 v[6:7], v11, off
	s_branch .LBB9_2
.LBB9_19:
	s_nop 0
	s_sendmsg sendmsg(MSG_DEALLOC_VGPRS)
	s_endpgm
	.section	.rodata,"a",@progbits
	.p2align	6, 0x0
	.amdhsa_kernel batched_transpose_32x32_dword
		.amdhsa_group_segment_fixed_size 4352
		.amdhsa_private_segment_fixed_size 0
		.amdhsa_kernarg_size 48
		.amdhsa_user_sgpr_count 15
		.amdhsa_user_sgpr_dispatch_ptr 0
		.amdhsa_user_sgpr_queue_ptr 0
		.amdhsa_user_sgpr_kernarg_segment_ptr 1
		.amdhsa_user_sgpr_dispatch_id 0
		.amdhsa_user_sgpr_private_segment_size 0
		.amdhsa_wavefront_size32 1
		.amdhsa_uses_dynamic_stack 0
		.amdhsa_enable_private_segment 0
		.amdhsa_system_sgpr_workgroup_id_x 1
		.amdhsa_system_sgpr_workgroup_id_y 0
		.amdhsa_system_sgpr_workgroup_id_z 0
		.amdhsa_system_sgpr_workgroup_info 0
		.amdhsa_system_vgpr_workitem_id 0
		.amdhsa_next_free_vgpr 19
		.amdhsa_next_free_sgpr 38
		.amdhsa_reserve_vcc 1
		.amdhsa_float_round_mode_32 0
		.amdhsa_float_round_mode_16_64 0
		.amdhsa_float_denorm_mode_32 3
		.amdhsa_float_denorm_mode_16_64 3
		.amdhsa_dx10_clamp 1
		.amdhsa_ieee_mode 1
		.amdhsa_fp16_overflow 0
		.amdhsa_workgroup_processor_mode 1
		.amdhsa_memory_ordered 1
		.amdhsa_forward_progress 0
		.amdhsa_shared_vgpr_count 0
		.amdhsa_exception_fp_ieee_invalid_op 0
		.amdhsa_exception_fp_denorm_src 0
		.amdhsa_exception_fp_ieee_div_zero 0
		.amdhsa_exception_fp_ieee_overflow 0
		.amdhsa_exception_fp_ieee_underflow 0
		.amdhsa_exception_fp_ieee_inexact 0
		.amdhsa_exception_int_div_zero 0
	.end_amdhsa_kernel
	.text
.Lfunc_end9:
	.size	batched_transpose_32x32_dword, .Lfunc_end9-batched_transpose_32x32_dword
                                        ; -- End function
	.section	.AMDGPU.csdata,"",@progbits
; Kernel info:
; codeLenInByte = 920
; NumSgprs: 40
; NumVgprs: 19
; ScratchSize: 0
; MemoryBound: 0
; FloatMode: 240
; IeeeMode: 1
; LDSByteSize: 4352 bytes/workgroup (compile time only)
; SGPRBlocks: 4
; VGPRBlocks: 2
; NumSGPRsForWavesPerEU: 40
; NumVGPRsForWavesPerEU: 19
; Occupancy: 16
; WaveLimiterHint : 0
; COMPUTE_PGM_RSRC2:SCRATCH_EN: 0
; COMPUTE_PGM_RSRC2:USER_SGPR: 15
; COMPUTE_PGM_RSRC2:TRAP_HANDLER: 0
; COMPUTE_PGM_RSRC2:TGID_X_EN: 1
; COMPUTE_PGM_RSRC2:TGID_Y_EN: 0
; COMPUTE_PGM_RSRC2:TGID_Z_EN: 0
; COMPUTE_PGM_RSRC2:TIDIG_COMP_CNT: 0
	.text
	.protected	batched_transpose_32x32_half ; -- Begin function batched_transpose_32x32_half
	.globl	batched_transpose_32x32_half
	.p2align	8
	.type	batched_transpose_32x32_half,@function
batched_transpose_32x32_half:           ; @batched_transpose_32x32_half
; %bb.0:
	s_load_b256 s[4:11], s[0:1], 0x10
	s_waitcnt lgkmcnt(0)
	s_cmp_ge_u32 s15, s7
	s_cbranch_scc1 .LBB10_19
; %bb.1:
	s_load_b128 s[16:19], s[0:1], 0x0
	s_mov_b32 s1, 0
	s_lshl_b32 s0, s5, 4
	s_add_i32 s3, s4, 31
	s_lshl_b64 s[12:13], s[0:1], 1
	s_add_i32 s29, s5, 31
	s_lshr_b32 s3, s3, 5
	v_dual_mov_b32 v1, 0 :: v_dual_and_b32 v6, 15, v0
	v_lshrrev_b32_e32 v7, 4, v0
	s_mov_b32 s2, s5
                                        ; implicit-def: $vgpr10
                                        ; implicit-def: $vgpr11
                                        ; implicit-def: $vgpr12
                                        ; implicit-def: $vgpr13
	s_delay_alu instid0(VALU_DEP_2) | instskip(NEXT) | instid1(VALU_DEP_2)
	v_mul_u32_u24_e32 v2, 17, v6
	v_mul_u32_u24_e32 v0, 17, v7
	s_delay_alu instid0(VALU_DEP_2) | instskip(NEXT) | instid1(VALU_DEP_2)
	v_add_lshl_u32 v9, v2, v7, 3
	v_add_lshl_u32 v8, v0, v6, 3
	s_waitcnt lgkmcnt(0)
	s_add_u32 s12, s18, s12
	s_addc_u32 s13, s19, s13
	s_lshl_b32 s0, s4, 4
	s_delay_alu instid0(SALU_CYCLE_1) | instskip(NEXT) | instid1(SALU_CYCLE_1)
	s_lshl_b64 s[0:1], s[0:1], 1
	s_add_u32 s14, s16, s0
	s_addc_u32 s20, s17, s1
	s_add_u32 s21, s18, 32
	s_addc_u32 s22, s19, 0
	;; [unrolled: 2-line block ×5, first 2 shown]
	s_and_b32 s0, s29, 0xffffffe0
	s_lshl_b32 s29, s15, 5
	s_sub_i32 s30, 0, s0
	s_lshl_b32 s31, s6, 5
	s_branch .LBB10_3
.LBB10_2:                               ;   in Loop: Header=BB10_3 Depth=1
	s_or_b32 exec_lo, exec_lo, s0
	s_add_i32 s15, s15, s6
	s_add_i32 s29, s29, s31
	s_cmp_lt_u32 s15, s7
	s_cbranch_scc0 .LBB10_19
.LBB10_3:                               ; =>This Inner Loop Header: Depth=1
	s_mul_hi_u32 s0, s10, s15
	s_waitcnt lgkmcnt(0)
	v_mov_b32_e32 v5, v1
	s_add_i32 s0, s15, s0
	s_delay_alu instid0(SALU_CYCLE_1)
	s_lshr_b32 s0, s0, s11
	s_waitcnt_vscnt null, 0x0
	s_barrier
	s_mul_hi_u32 s1, s0, s8
	s_mul_i32 s35, s30, s0
	s_add_i32 s1, s0, s1
	v_add3_u32 v4, s35, s29, v6
	s_lshr_b32 s33, s1, s9
	buffer_gl0_inv
	s_mul_i32 s1, s33, s3
	v_cmp_gt_u32_e32 vcc_lo, s5, v4
	s_sub_i32 s1, s0, s1
	s_delay_alu instid0(SALU_CYCLE_1) | instskip(NEXT) | instid1(SALU_CYCLE_1)
	s_lshl_b32 s34, s1, 5
	v_or_b32_e32 v0, s34, v7
	s_delay_alu instid0(VALU_DEP_1) | instskip(SKIP_1) | instid1(VALU_DEP_1)
	v_mad_u64_u32 v[2:3], null, s33, s4, v[0:1]
	v_cmp_gt_u32_e64 s1, s4, v0
	s_and_b32 s0, s1, vcc_lo
	s_delay_alu instid0(VALU_DEP_2) | instskip(NEXT) | instid1(VALU_DEP_1)
	v_mad_u64_u32 v[14:15], null, v2, s2, v[4:5]
	v_mov_b32_e32 v2, v15
	s_delay_alu instid0(VALU_DEP_1) | instskip(NEXT) | instid1(VALU_DEP_1)
	v_mad_u64_u32 v[15:16], null, v3, s2, v[2:3]
	v_lshlrev_b64 v[2:3], 1, v[14:15]
	s_and_saveexec_b32 s36, s0
	s_cbranch_execz .LBB10_5
; %bb.4:                                ;   in Loop: Header=BB10_3 Depth=1
	s_delay_alu instid0(VALU_DEP_1) | instskip(NEXT) | instid1(VALU_DEP_1)
	v_add_co_u32 v13, s0, s18, v2
	v_add_co_ci_u32_e64 v14, s0, s19, v3, s0
	global_load_u16 v13, v[13:14], off
.LBB10_5:                               ;   in Loop: Header=BB10_3 Depth=1
	s_or_b32 exec_lo, exec_lo, s36
	v_add_nc_u32_e32 v4, 16, v4
	s_delay_alu instid0(VALU_DEP_1) | instskip(NEXT) | instid1(VALU_DEP_1)
	v_cmp_gt_u32_e64 s0, s5, v4
	s_and_b32 s1, s1, s0
	s_delay_alu instid0(SALU_CYCLE_1)
	s_and_saveexec_b32 s36, s1
	s_cbranch_execz .LBB10_7
; %bb.6:                                ;   in Loop: Header=BB10_3 Depth=1
	v_add_co_u32 v4, s1, s21, v2
	s_delay_alu instid0(VALU_DEP_1)
	v_add_co_ci_u32_e64 v5, s1, s22, v3, s1
	global_load_u16 v11, v[4:5], off
.LBB10_7:                               ;   in Loop: Header=BB10_3 Depth=1
	s_or_b32 exec_lo, exec_lo, s36
	v_add_nc_u32_e32 v0, 16, v0
	s_delay_alu instid0(VALU_DEP_1) | instskip(NEXT) | instid1(VALU_DEP_1)
	v_cmp_gt_u32_e64 s1, s4, v0
	s_and_b32 s37, s1, vcc_lo
	s_delay_alu instid0(SALU_CYCLE_1)
	s_and_saveexec_b32 s36, s37
	s_cbranch_execz .LBB10_9
; %bb.8:                                ;   in Loop: Header=BB10_3 Depth=1
	v_add_co_u32 v4, vcc_lo, s12, v2
	v_add_co_ci_u32_e32 v5, vcc_lo, s13, v3, vcc_lo
	global_load_u16 v12, v[4:5], off
.LBB10_9:                               ;   in Loop: Header=BB10_3 Depth=1
	s_or_b32 exec_lo, exec_lo, s36
	s_and_b32 s1, s1, s0
	s_delay_alu instid0(SALU_CYCLE_1)
	s_and_saveexec_b32 s0, s1
	s_cbranch_execz .LBB10_11
; %bb.10:                               ;   in Loop: Header=BB10_3 Depth=1
	v_add_co_u32 v2, vcc_lo, s23, v2
	v_add_co_ci_u32_e32 v3, vcc_lo, s24, v3, vcc_lo
	global_load_u16 v10, v[2:3], off
.LBB10_11:                              ;   in Loop: Header=BB10_3 Depth=1
	s_or_b32 exec_lo, exec_lo, s0
	v_add3_u32 v0, s35, s29, v7
	v_or_b32_e32 v4, s34, v6
	v_mov_b32_e32 v5, v1
	s_waitcnt vmcnt(0)
	v_perm_b32 v15, v10, v11, 0x5040100
	v_perm_b32 v14, v12, v13, 0x5040100
	v_mad_u64_u32 v[2:3], null, s33, s2, v[0:1]
	v_cmp_gt_u32_e32 vcc_lo, s4, v4
	v_cmp_gt_u32_e64 s1, s5, v0
	ds_store_b64 v8, v[14:15]
	s_waitcnt lgkmcnt(0)
	s_barrier
	buffer_gl0_inv
	v_mad_u64_u32 v[16:17], null, v2, s4, v[4:5]
	ds_load_u16 v14, v9 offset:2
	ds_load_b32 v5, v9 offset:4
	s_and_b32 s0, s1, vcc_lo
	v_mov_b32_e32 v2, v17
	s_delay_alu instid0(VALU_DEP_1) | instskip(NEXT) | instid1(VALU_DEP_1)
	v_mad_u64_u32 v[17:18], null, v3, s4, v[2:3]
	v_lshlrev_b64 v[2:3], 1, v[16:17]
	s_and_saveexec_b32 s33, s0
	s_cbranch_execz .LBB10_13
; %bb.12:                               ;   in Loop: Header=BB10_3 Depth=1
	ds_load_u16 v17, v9
	v_add_co_u32 v15, s0, s16, v2
	s_delay_alu instid0(VALU_DEP_1)
	v_add_co_ci_u32_e64 v16, s0, s17, v3, s0
	s_waitcnt lgkmcnt(0)
	global_store_b16 v[15:16], v17, off
.LBB10_13:                              ;   in Loop: Header=BB10_3 Depth=1
	s_or_b32 exec_lo, exec_lo, s33
	v_or_b32_e32 v4, 16, v4
	s_delay_alu instid0(VALU_DEP_1) | instskip(NEXT) | instid1(VALU_DEP_1)
	v_cmp_gt_u32_e64 s0, s4, v4
	s_and_b32 s1, s1, s0
	s_delay_alu instid0(SALU_CYCLE_1)
	s_and_saveexec_b32 s33, s1
	s_cbranch_execz .LBB10_15
; %bb.14:                               ;   in Loop: Header=BB10_3 Depth=1
	v_add_co_u32 v15, s1, s25, v2
	s_delay_alu instid0(VALU_DEP_1)
	v_add_co_ci_u32_e64 v16, s1, s26, v3, s1
	s_waitcnt lgkmcnt(1)
	global_store_b16 v[15:16], v14, off
.LBB10_15:                              ;   in Loop: Header=BB10_3 Depth=1
	s_or_b32 exec_lo, exec_lo, s33
	v_add_nc_u32_e32 v0, 16, v0
	s_delay_alu instid0(VALU_DEP_1) | instskip(NEXT) | instid1(VALU_DEP_1)
	v_cmp_gt_u32_e64 s1, s5, v0
	s_and_b32 s34, s1, vcc_lo
	s_delay_alu instid0(SALU_CYCLE_1)
	s_and_saveexec_b32 s33, s34
	s_cbranch_execz .LBB10_17
; %bb.16:                               ;   in Loop: Header=BB10_3 Depth=1
	s_waitcnt lgkmcnt(1)
	v_add_co_u32 v14, vcc_lo, s14, v2
	v_add_co_ci_u32_e32 v15, vcc_lo, s20, v3, vcc_lo
	s_waitcnt lgkmcnt(0)
	global_store_b16 v[14:15], v5, off
.LBB10_17:                              ;   in Loop: Header=BB10_3 Depth=1
	s_or_b32 exec_lo, exec_lo, s33
	s_and_b32 s1, s1, s0
	s_delay_alu instid0(SALU_CYCLE_1)
	s_and_saveexec_b32 s0, s1
	s_cbranch_execz .LBB10_2
; %bb.18:                               ;   in Loop: Header=BB10_3 Depth=1
	v_add_co_u32 v2, vcc_lo, s27, v2
	v_add_co_ci_u32_e32 v3, vcc_lo, s28, v3, vcc_lo
	s_waitcnt lgkmcnt(0)
	global_store_d16_hi_b16 v[2:3], v5, off
	s_branch .LBB10_2
.LBB10_19:
	s_nop 0
	s_sendmsg sendmsg(MSG_DEALLOC_VGPRS)
	s_endpgm
	.section	.rodata,"a",@progbits
	.p2align	6, 0x0
	.amdhsa_kernel batched_transpose_32x32_half
		.amdhsa_group_segment_fixed_size 2176
		.amdhsa_private_segment_fixed_size 0
		.amdhsa_kernarg_size 48
		.amdhsa_user_sgpr_count 15
		.amdhsa_user_sgpr_dispatch_ptr 0
		.amdhsa_user_sgpr_queue_ptr 0
		.amdhsa_user_sgpr_kernarg_segment_ptr 1
		.amdhsa_user_sgpr_dispatch_id 0
		.amdhsa_user_sgpr_private_segment_size 0
		.amdhsa_wavefront_size32 1
		.amdhsa_uses_dynamic_stack 0
		.amdhsa_enable_private_segment 0
		.amdhsa_system_sgpr_workgroup_id_x 1
		.amdhsa_system_sgpr_workgroup_id_y 0
		.amdhsa_system_sgpr_workgroup_id_z 0
		.amdhsa_system_sgpr_workgroup_info 0
		.amdhsa_system_vgpr_workitem_id 0
		.amdhsa_next_free_vgpr 19
		.amdhsa_next_free_sgpr 38
		.amdhsa_reserve_vcc 1
		.amdhsa_float_round_mode_32 0
		.amdhsa_float_round_mode_16_64 0
		.amdhsa_float_denorm_mode_32 3
		.amdhsa_float_denorm_mode_16_64 3
		.amdhsa_dx10_clamp 1
		.amdhsa_ieee_mode 1
		.amdhsa_fp16_overflow 0
		.amdhsa_workgroup_processor_mode 1
		.amdhsa_memory_ordered 1
		.amdhsa_forward_progress 0
		.amdhsa_shared_vgpr_count 0
		.amdhsa_exception_fp_ieee_invalid_op 0
		.amdhsa_exception_fp_denorm_src 0
		.amdhsa_exception_fp_ieee_div_zero 0
		.amdhsa_exception_fp_ieee_overflow 0
		.amdhsa_exception_fp_ieee_underflow 0
		.amdhsa_exception_fp_ieee_inexact 0
		.amdhsa_exception_int_div_zero 0
	.end_amdhsa_kernel
	.text
.Lfunc_end10:
	.size	batched_transpose_32x32_half, .Lfunc_end10-batched_transpose_32x32_half
                                        ; -- End function
	.section	.AMDGPU.csdata,"",@progbits
; Kernel info:
; codeLenInByte = 936
; NumSgprs: 40
; NumVgprs: 19
; ScratchSize: 0
; MemoryBound: 0
; FloatMode: 240
; IeeeMode: 1
; LDSByteSize: 2176 bytes/workgroup (compile time only)
; SGPRBlocks: 4
; VGPRBlocks: 2
; NumSGPRsForWavesPerEU: 40
; NumVGPRsForWavesPerEU: 19
; Occupancy: 16
; WaveLimiterHint : 0
; COMPUTE_PGM_RSRC2:SCRATCH_EN: 0
; COMPUTE_PGM_RSRC2:USER_SGPR: 15
; COMPUTE_PGM_RSRC2:TRAP_HANDLER: 0
; COMPUTE_PGM_RSRC2:TGID_X_EN: 1
; COMPUTE_PGM_RSRC2:TGID_Y_EN: 0
; COMPUTE_PGM_RSRC2:TGID_Z_EN: 0
; COMPUTE_PGM_RSRC2:TIDIG_COMP_CNT: 0
	.text
	.protected	batched_transpose_32x32_byte ; -- Begin function batched_transpose_32x32_byte
	.globl	batched_transpose_32x32_byte
	.p2align	8
	.type	batched_transpose_32x32_byte,@function
batched_transpose_32x32_byte:           ; @batched_transpose_32x32_byte
; %bb.0:
	s_load_b256 s[4:11], s[0:1], 0x10
	s_waitcnt lgkmcnt(0)
	s_cmp_ge_u32 s15, s7
	s_cbranch_scc1 .LBB11_19
; %bb.1:
	s_load_b128 s[16:19], s[0:1], 0x0
	s_add_i32 s0, s4, 31
	s_lshl_b32 s12, s5, 4
	s_add_i32 s1, s5, 31
	s_lshr_b32 s3, s0, 5
	v_lshrrev_b32_e32 v6, 4, v0
	v_and_b32_e32 v7, 15, v0
	v_mov_b32_e32 v1, 0
	s_mov_b32 s2, s5
                                        ; implicit-def: $vgpr10
                                        ; implicit-def: $vgpr11
                                        ; implicit-def: $vgpr12
                                        ; implicit-def: $vgpr13
	s_delay_alu instid0(VALU_DEP_3) | instskip(NEXT) | instid1(VALU_DEP_3)
	v_mul_u32_u24_e32 v0, 17, v6
	v_mul_u32_u24_e32 v2, 17, v7
	s_delay_alu instid0(VALU_DEP_2) | instskip(NEXT) | instid1(VALU_DEP_2)
	v_add_lshl_u32 v8, v0, v7, 2
	v_add_lshl_u32 v9, v2, v6, 2
	s_waitcnt lgkmcnt(0)
	s_add_u32 s12, s18, s12
	s_addc_u32 s13, s19, 0
	s_lshl_b32 s0, s4, 4
	s_delay_alu instid0(SALU_CYCLE_1)
	s_add_u32 s14, s16, s0
	s_addc_u32 s20, s17, 0
	s_add_u32 s21, s18, 16
	s_addc_u32 s22, s19, 0
	;; [unrolled: 2-line block ×5, first 2 shown]
	s_and_not1_b32 s1, s1, 31
	s_lshl_b32 s29, s15, 5
	s_sub_i32 s30, 0, s1
	s_lshl_b32 s31, s6, 5
	s_branch .LBB11_3
.LBB11_2:                               ;   in Loop: Header=BB11_3 Depth=1
	s_or_b32 exec_lo, exec_lo, s0
	s_add_i32 s15, s15, s6
	s_add_i32 s29, s29, s31
	s_cmp_lt_u32 s15, s7
	s_cbranch_scc0 .LBB11_19
.LBB11_3:                               ; =>This Inner Loop Header: Depth=1
	s_mul_hi_u32 s0, s10, s15
	s_waitcnt lgkmcnt(0)
	v_mov_b32_e32 v5, v1
	s_add_i32 s0, s15, s0
	s_delay_alu instid0(SALU_CYCLE_1)
	s_lshr_b32 s0, s0, s11
	s_waitcnt_vscnt null, 0x0
	s_barrier
	s_mul_hi_u32 s1, s0, s8
	s_mul_i32 s35, s30, s0
	s_add_i32 s1, s0, s1
	v_add3_u32 v4, s35, s29, v7
	s_lshr_b32 s33, s1, s9
	buffer_gl0_inv
	s_mul_i32 s1, s33, s3
	v_cmp_gt_u32_e32 vcc_lo, s5, v4
	s_sub_i32 s1, s0, s1
	s_delay_alu instid0(SALU_CYCLE_1) | instskip(NEXT) | instid1(SALU_CYCLE_1)
	s_lshl_b32 s34, s1, 5
	v_or_b32_e32 v0, s34, v6
	s_delay_alu instid0(VALU_DEP_1) | instskip(SKIP_1) | instid1(VALU_DEP_1)
	v_mad_u64_u32 v[14:15], null, s33, s4, v[0:1]
	v_cmp_gt_u32_e64 s1, s4, v0
	s_and_b32 s0, s1, vcc_lo
	s_delay_alu instid0(VALU_DEP_2) | instskip(NEXT) | instid1(VALU_DEP_1)
	v_mad_u64_u32 v[2:3], null, v14, s2, v[4:5]
	v_mad_u64_u32 v[16:17], null, v15, s2, v[3:4]
	s_delay_alu instid0(VALU_DEP_1)
	v_mov_b32_e32 v3, v16
	s_and_saveexec_b32 s36, s0
	s_cbranch_execz .LBB11_5
; %bb.4:                                ;   in Loop: Header=BB11_3 Depth=1
	s_delay_alu instid0(VALU_DEP_3) | instskip(NEXT) | instid1(VALU_DEP_1)
	v_add_co_u32 v13, s0, s18, v2
	v_add_co_ci_u32_e64 v14, s0, s19, v3, s0
	global_load_u8 v13, v[13:14], off
.LBB11_5:                               ;   in Loop: Header=BB11_3 Depth=1
	s_or_b32 exec_lo, exec_lo, s36
	v_add_nc_u32_e32 v4, 16, v4
	s_delay_alu instid0(VALU_DEP_1) | instskip(NEXT) | instid1(VALU_DEP_1)
	v_cmp_gt_u32_e64 s0, s5, v4
	s_and_b32 s1, s1, s0
	s_delay_alu instid0(SALU_CYCLE_1)
	s_and_saveexec_b32 s36, s1
	s_cbranch_execz .LBB11_7
; %bb.6:                                ;   in Loop: Header=BB11_3 Depth=1
	v_add_co_u32 v4, s1, s21, v2
	s_delay_alu instid0(VALU_DEP_1)
	v_add_co_ci_u32_e64 v5, s1, s22, v3, s1
	global_load_u8 v11, v[4:5], off
.LBB11_7:                               ;   in Loop: Header=BB11_3 Depth=1
	s_or_b32 exec_lo, exec_lo, s36
	v_add_nc_u32_e32 v0, 16, v0
	s_delay_alu instid0(VALU_DEP_1) | instskip(NEXT) | instid1(VALU_DEP_1)
	v_cmp_gt_u32_e64 s1, s4, v0
	s_and_b32 s37, s1, vcc_lo
	s_delay_alu instid0(SALU_CYCLE_1)
	s_and_saveexec_b32 s36, s37
	s_cbranch_execz .LBB11_9
; %bb.8:                                ;   in Loop: Header=BB11_3 Depth=1
	v_add_co_u32 v4, vcc_lo, s12, v2
	v_add_co_ci_u32_e32 v5, vcc_lo, s13, v3, vcc_lo
	global_load_u8 v12, v[4:5], off
.LBB11_9:                               ;   in Loop: Header=BB11_3 Depth=1
	s_or_b32 exec_lo, exec_lo, s36
	s_and_b32 s1, s1, s0
	s_delay_alu instid0(SALU_CYCLE_1)
	s_and_saveexec_b32 s0, s1
	s_cbranch_execz .LBB11_11
; %bb.10:                               ;   in Loop: Header=BB11_3 Depth=1
	v_add_co_u32 v2, vcc_lo, s23, v2
	v_add_co_ci_u32_e32 v3, vcc_lo, s24, v3, vcc_lo
	global_load_u8 v10, v[2:3], off
.LBB11_11:                              ;   in Loop: Header=BB11_3 Depth=1
	s_or_b32 exec_lo, exec_lo, s0
	s_waitcnt vmcnt(0)
	v_lshlrev_b16 v0, 8, v12
	v_dual_mov_b32 v5, v1 :: v_dual_and_b32 v2, 0xff, v13
	v_lshlrev_b16 v3, 8, v10
	v_and_b32_e32 v4, 0xff, v11
	s_delay_alu instid0(VALU_DEP_3) | instskip(SKIP_1) | instid1(VALU_DEP_3)
	v_or_b32_e32 v2, v2, v0
	v_add3_u32 v0, s35, s29, v6
	v_or_b32_e32 v3, v4, v3
	v_or_b32_e32 v4, s34, v7
	s_delay_alu instid0(VALU_DEP_4) | instskip(NEXT) | instid1(VALU_DEP_4)
	v_and_b32_e32 v2, 0xffff, v2
	v_mad_u64_u32 v[14:15], null, s33, s2, v[0:1]
	s_delay_alu instid0(VALU_DEP_4) | instskip(NEXT) | instid1(VALU_DEP_4)
	v_lshlrev_b32_e32 v3, 16, v3
	v_cmp_gt_u32_e32 vcc_lo, s4, v4
	v_cmp_gt_u32_e64 s1, s5, v0
	s_delay_alu instid0(VALU_DEP_3) | instskip(SKIP_1) | instid1(VALU_DEP_3)
	v_or_b32_e32 v16, v2, v3
	v_mad_u64_u32 v[2:3], null, v14, s4, v[4:5]
	s_and_b32 s0, s1, vcc_lo
	ds_store_b32 v8, v16
	s_waitcnt lgkmcnt(0)
	s_barrier
	buffer_gl0_inv
	ds_load_u8 v14, v9 offset:1
	ds_load_u16 v5, v9 offset:2
	v_mad_u64_u32 v[16:17], null, v15, s4, v[3:4]
	s_delay_alu instid0(VALU_DEP_1)
	v_mov_b32_e32 v3, v16
	s_and_saveexec_b32 s33, s0
	s_cbranch_execz .LBB11_13
; %bb.12:                               ;   in Loop: Header=BB11_3 Depth=1
	ds_load_u8 v17, v9
	v_add_co_u32 v15, s0, s16, v2
	s_delay_alu instid0(VALU_DEP_1)
	v_add_co_ci_u32_e64 v16, s0, s17, v3, s0
	s_waitcnt lgkmcnt(0)
	global_store_b8 v[15:16], v17, off
.LBB11_13:                              ;   in Loop: Header=BB11_3 Depth=1
	s_or_b32 exec_lo, exec_lo, s33
	v_or_b32_e32 v4, 16, v4
	s_delay_alu instid0(VALU_DEP_1) | instskip(NEXT) | instid1(VALU_DEP_1)
	v_cmp_gt_u32_e64 s0, s4, v4
	s_and_b32 s1, s1, s0
	s_delay_alu instid0(SALU_CYCLE_1)
	s_and_saveexec_b32 s33, s1
	s_cbranch_execz .LBB11_15
; %bb.14:                               ;   in Loop: Header=BB11_3 Depth=1
	v_add_co_u32 v15, s1, s25, v2
	s_delay_alu instid0(VALU_DEP_1)
	v_add_co_ci_u32_e64 v16, s1, s26, v3, s1
	s_waitcnt lgkmcnt(1)
	global_store_b8 v[15:16], v14, off
.LBB11_15:                              ;   in Loop: Header=BB11_3 Depth=1
	s_or_b32 exec_lo, exec_lo, s33
	v_add_nc_u32_e32 v0, 16, v0
	s_delay_alu instid0(VALU_DEP_1) | instskip(NEXT) | instid1(VALU_DEP_1)
	v_cmp_gt_u32_e64 s1, s5, v0
	s_and_b32 s34, s1, vcc_lo
	s_delay_alu instid0(SALU_CYCLE_1)
	s_and_saveexec_b32 s33, s34
	s_cbranch_execz .LBB11_17
; %bb.16:                               ;   in Loop: Header=BB11_3 Depth=1
	s_waitcnt lgkmcnt(1)
	v_add_co_u32 v14, vcc_lo, s14, v2
	v_add_co_ci_u32_e32 v15, vcc_lo, s20, v3, vcc_lo
	s_waitcnt lgkmcnt(0)
	global_store_b8 v[14:15], v5, off
.LBB11_17:                              ;   in Loop: Header=BB11_3 Depth=1
	s_or_b32 exec_lo, exec_lo, s33
	s_and_b32 s1, s1, s0
	s_delay_alu instid0(SALU_CYCLE_1)
	s_and_saveexec_b32 s0, s1
	s_cbranch_execz .LBB11_2
; %bb.18:                               ;   in Loop: Header=BB11_3 Depth=1
	v_add_co_u32 v2, vcc_lo, s27, v2
	s_waitcnt lgkmcnt(0)
	v_lshrrev_b16 v0, 8, v5
	v_add_co_ci_u32_e32 v3, vcc_lo, s28, v3, vcc_lo
	global_store_b8 v[2:3], v0, off
	s_branch .LBB11_2
.LBB11_19:
	s_nop 0
	s_sendmsg sendmsg(MSG_DEALLOC_VGPRS)
	s_endpgm
	.section	.rodata,"a",@progbits
	.p2align	6, 0x0
	.amdhsa_kernel batched_transpose_32x32_byte
		.amdhsa_group_segment_fixed_size 1088
		.amdhsa_private_segment_fixed_size 0
		.amdhsa_kernarg_size 48
		.amdhsa_user_sgpr_count 15
		.amdhsa_user_sgpr_dispatch_ptr 0
		.amdhsa_user_sgpr_queue_ptr 0
		.amdhsa_user_sgpr_kernarg_segment_ptr 1
		.amdhsa_user_sgpr_dispatch_id 0
		.amdhsa_user_sgpr_private_segment_size 0
		.amdhsa_wavefront_size32 1
		.amdhsa_uses_dynamic_stack 0
		.amdhsa_enable_private_segment 0
		.amdhsa_system_sgpr_workgroup_id_x 1
		.amdhsa_system_sgpr_workgroup_id_y 0
		.amdhsa_system_sgpr_workgroup_id_z 0
		.amdhsa_system_sgpr_workgroup_info 0
		.amdhsa_system_vgpr_workitem_id 0
		.amdhsa_next_free_vgpr 18
		.amdhsa_next_free_sgpr 38
		.amdhsa_reserve_vcc 1
		.amdhsa_float_round_mode_32 0
		.amdhsa_float_round_mode_16_64 0
		.amdhsa_float_denorm_mode_32 3
		.amdhsa_float_denorm_mode_16_64 3
		.amdhsa_dx10_clamp 1
		.amdhsa_ieee_mode 1
		.amdhsa_fp16_overflow 0
		.amdhsa_workgroup_processor_mode 1
		.amdhsa_memory_ordered 1
		.amdhsa_forward_progress 0
		.amdhsa_shared_vgpr_count 0
		.amdhsa_exception_fp_ieee_invalid_op 0
		.amdhsa_exception_fp_denorm_src 0
		.amdhsa_exception_fp_ieee_div_zero 0
		.amdhsa_exception_fp_ieee_overflow 0
		.amdhsa_exception_fp_ieee_underflow 0
		.amdhsa_exception_fp_ieee_inexact 0
		.amdhsa_exception_int_div_zero 0
	.end_amdhsa_kernel
	.text
.Lfunc_end11:
	.size	batched_transpose_32x32_byte, .Lfunc_end11-batched_transpose_32x32_byte
                                        ; -- End function
	.section	.AMDGPU.csdata,"",@progbits
; Kernel info:
; codeLenInByte = 960
; NumSgprs: 40
; NumVgprs: 18
; ScratchSize: 0
; MemoryBound: 0
; FloatMode: 240
; IeeeMode: 1
; LDSByteSize: 1088 bytes/workgroup (compile time only)
; SGPRBlocks: 4
; VGPRBlocks: 2
; NumSGPRsForWavesPerEU: 40
; NumVGPRsForWavesPerEU: 18
; Occupancy: 16
; WaveLimiterHint : 0
; COMPUTE_PGM_RSRC2:SCRATCH_EN: 0
; COMPUTE_PGM_RSRC2:USER_SGPR: 15
; COMPUTE_PGM_RSRC2:TRAP_HANDLER: 0
; COMPUTE_PGM_RSRC2:TGID_X_EN: 1
; COMPUTE_PGM_RSRC2:TGID_Y_EN: 0
; COMPUTE_PGM_RSRC2:TGID_Z_EN: 0
; COMPUTE_PGM_RSRC2:TIDIG_COMP_CNT: 0
	.text
	.protected	batched_transpose_4x256_dword ; -- Begin function batched_transpose_4x256_dword
	.globl	batched_transpose_4x256_dword
	.p2align	8
	.type	batched_transpose_4x256_dword,@function
batched_transpose_4x256_dword:          ; @batched_transpose_4x256_dword
; %bb.0:
	s_load_b256 s[4:11], s[0:1], 0x10
	s_waitcnt lgkmcnt(0)
	s_cmp_ge_u32 s15, s7
	s_cbranch_scc1 .LBB12_19
; %bb.1:
	s_load_b128 s[16:19], s[0:1], 0x0
	s_mov_b32 s3, 0
	s_mov_b32 s12, s4
	;; [unrolled: 1-line block ×3, first 2 shown]
	s_add_i32 s0, s4, 0xff
	s_lshl_b64 s[20:21], s[12:13], 2
	s_add_i32 s31, s5, 3
	s_lshr_b32 s1, s0, 8
	v_mov_b32_e32 v2, 0
                                        ; implicit-def: $vgpr5
                                        ; implicit-def: $vgpr6
                                        ; implicit-def: $vgpr7
                                        ; implicit-def: $vgpr8
	s_waitcnt lgkmcnt(0)
	s_add_u32 s13, s16, s20
	s_addc_u32 s14, s17, s21
	s_lshl_b32 s2, s4, 1
	s_mov_b32 s20, s5
	s_lshl_b64 s[22:23], s[2:3], 2
	s_mul_i32 s2, s4, 3
	s_add_u32 s21, s16, s22
	s_addc_u32 s22, s17, s23
	s_lshl_b64 s[24:25], s[2:3], 2
	s_delay_alu instid0(SALU_CYCLE_1)
	s_add_u32 s23, s16, s24
	s_addc_u32 s24, s17, s25
	s_add_u32 s25, s18, 4
	s_addc_u32 s26, s19, 0
	;; [unrolled: 2-line block ×4, first 2 shown]
	s_and_b32 s0, s31, -4
	s_lshl_b32 s31, s15, 2
	s_sub_i32 s33, 0, s0
	s_lshl_b32 s34, s6, 2
	s_branch .LBB12_3
.LBB12_2:                               ;   in Loop: Header=BB12_3 Depth=1
	s_or_b32 exec_lo, exec_lo, s2
	s_add_i32 s15, s15, s6
	s_add_i32 s31, s31, s34
	s_cmp_lt_u32 s15, s7
	s_cbranch_scc0 .LBB12_19
.LBB12_3:                               ; =>This Inner Loop Header: Depth=1
	s_mul_hi_u32 s0, s10, s15
	s_delay_alu instid0(SALU_CYCLE_1) | instskip(NEXT) | instid1(SALU_CYCLE_1)
	s_add_i32 s0, s15, s0
	s_lshr_b32 s0, s0, s11
	s_delay_alu instid0(SALU_CYCLE_1) | instskip(NEXT) | instid1(SALU_CYCLE_1)
	s_mul_hi_u32 s2, s0, s8
	s_add_i32 s2, s0, s2
	s_delay_alu instid0(SALU_CYCLE_1) | instskip(NEXT) | instid1(SALU_CYCLE_1)
	s_lshr_b32 s35, s2, s9
	s_mul_i32 s2, s35, s1
	s_delay_alu instid0(SALU_CYCLE_1) | instskip(SKIP_3) | instid1(SALU_CYCLE_1)
	s_sub_i32 s2, s0, s2
	s_mul_i32 s0, s33, s0
	v_lshl_or_b32 v1, s2, 8, v0
	s_add_i32 s2, s31, s0
	s_cmp_lt_u32 s2, s5
	s_cselect_b32 s0, -1, 0
	s_delay_alu instid0(VALU_DEP_1) | instskip(SKIP_2) | instid1(VALU_DEP_2)
	v_mad_u64_u32 v[3:4], null, s35, s12, v[1:2]
	v_cmp_gt_u32_e32 vcc_lo, s4, v1
	s_and_b32 s36, s0, vcc_lo
	v_mad_u64_u32 v[9:10], null, v3, s20, s[2:3]
	s_delay_alu instid0(VALU_DEP_1) | instskip(NEXT) | instid1(VALU_DEP_1)
	v_mov_b32_e32 v3, v10
	v_mad_u64_u32 v[10:11], null, v4, s20, v[3:4]
	s_delay_alu instid0(VALU_DEP_1)
	v_lshlrev_b64 v[3:4], 2, v[9:10]
	s_and_saveexec_b32 s37, s36
	s_cbranch_execz .LBB12_5
; %bb.4:                                ;   in Loop: Header=BB12_3 Depth=1
	s_waitcnt vmcnt(0)
	s_delay_alu instid0(VALU_DEP_1) | instskip(NEXT) | instid1(VALU_DEP_1)
	v_add_co_u32 v8, s0, s18, v3
	v_add_co_ci_u32_e64 v9, s0, s19, v4, s0
	global_load_b32 v8, v[8:9], off
.LBB12_5:                               ;   in Loop: Header=BB12_3 Depth=1
	s_or_b32 exec_lo, exec_lo, s37
	s_add_i32 s0, s2, 1
	s_delay_alu instid0(SALU_CYCLE_1) | instskip(SKIP_1) | instid1(SALU_CYCLE_1)
	s_cmp_lt_u32 s0, s5
	s_cselect_b32 s0, -1, 0
	s_and_b32 s37, vcc_lo, s0
	s_delay_alu instid0(SALU_CYCLE_1)
	s_and_saveexec_b32 s38, s37
	s_cbranch_execz .LBB12_7
; %bb.6:                                ;   in Loop: Header=BB12_3 Depth=1
	v_add_co_u32 v9, s0, s25, v3
	s_delay_alu instid0(VALU_DEP_1)
	v_add_co_ci_u32_e64 v10, s0, s26, v4, s0
	global_load_b32 v7, v[9:10], off
.LBB12_7:                               ;   in Loop: Header=BB12_3 Depth=1
	s_or_b32 exec_lo, exec_lo, s38
	s_add_i32 s0, s2, 2
	s_delay_alu instid0(SALU_CYCLE_1) | instskip(SKIP_1) | instid1(SALU_CYCLE_1)
	s_cmp_lt_u32 s0, s5
	s_cselect_b32 s0, -1, 0
	s_and_b32 s38, vcc_lo, s0
	s_delay_alu instid0(SALU_CYCLE_1)
	s_and_saveexec_b32 s39, s38
	s_cbranch_execz .LBB12_9
; %bb.8:                                ;   in Loop: Header=BB12_3 Depth=1
	v_add_co_u32 v9, s0, s27, v3
	s_delay_alu instid0(VALU_DEP_1)
	v_add_co_ci_u32_e64 v10, s0, s28, v4, s0
	global_load_b32 v6, v[9:10], off
.LBB12_9:                               ;   in Loop: Header=BB12_3 Depth=1
	s_or_b32 exec_lo, exec_lo, s39
	s_add_i32 s0, s2, 3
	s_delay_alu instid0(SALU_CYCLE_1) | instskip(SKIP_1) | instid1(SALU_CYCLE_1)
	s_cmp_lt_u32 s0, s5
	s_cselect_b32 s0, -1, 0
	s_and_b32 s0, vcc_lo, s0
	s_delay_alu instid0(SALU_CYCLE_1)
	s_and_saveexec_b32 s39, s0
	s_cbranch_execz .LBB12_11
; %bb.10:                               ;   in Loop: Header=BB12_3 Depth=1
	v_add_co_u32 v3, vcc_lo, s29, v3
	v_add_co_ci_u32_e32 v4, vcc_lo, s30, v4, vcc_lo
	global_load_b32 v5, v[3:4], off
.LBB12_11:                              ;   in Loop: Header=BB12_3 Depth=1
	s_or_b32 exec_lo, exec_lo, s39
	s_mul_i32 s39, s35, s20
	s_delay_alu instid0(SALU_CYCLE_1) | instskip(NEXT) | instid1(SALU_CYCLE_1)
	s_add_u32 s2, s39, s2
	v_mad_u64_u32 v[3:4], null, s2, s12, v[1:2]
	s_mul_hi_u32 s2, s35, s20
	s_delay_alu instid0(SALU_CYCLE_1) | instskip(NEXT) | instid1(VALU_DEP_1)
	s_addc_u32 s2, s2, 0
	v_mov_b32_e32 v1, v4
	s_delay_alu instid0(VALU_DEP_1) | instskip(NEXT) | instid1(VALU_DEP_1)
	v_mad_u64_u32 v[9:10], null, s2, s12, v[1:2]
	v_mov_b32_e32 v4, v9
	s_delay_alu instid0(VALU_DEP_1)
	v_lshlrev_b64 v[3:4], 2, v[3:4]
	s_and_saveexec_b32 s2, s36
	s_cbranch_execnz .LBB12_15
; %bb.12:                               ;   in Loop: Header=BB12_3 Depth=1
	s_or_b32 exec_lo, exec_lo, s2
	s_and_saveexec_b32 s2, s37
	s_cbranch_execnz .LBB12_16
.LBB12_13:                              ;   in Loop: Header=BB12_3 Depth=1
	s_or_b32 exec_lo, exec_lo, s2
	s_and_saveexec_b32 s2, s38
	s_cbranch_execnz .LBB12_17
.LBB12_14:                              ;   in Loop: Header=BB12_3 Depth=1
	s_or_b32 exec_lo, exec_lo, s2
	s_and_saveexec_b32 s2, s0
	s_cbranch_execz .LBB12_2
	s_branch .LBB12_18
.LBB12_15:                              ;   in Loop: Header=BB12_3 Depth=1
	s_delay_alu instid0(VALU_DEP_1) | instskip(NEXT) | instid1(VALU_DEP_2)
	v_add_co_u32 v9, vcc_lo, s16, v3
	v_add_co_ci_u32_e32 v10, vcc_lo, s17, v4, vcc_lo
	s_waitcnt vmcnt(0)
	global_store_b32 v[9:10], v8, off
	s_or_b32 exec_lo, exec_lo, s2
	s_and_saveexec_b32 s2, s37
	s_cbranch_execz .LBB12_13
.LBB12_16:                              ;   in Loop: Header=BB12_3 Depth=1
	v_add_co_u32 v9, vcc_lo, s13, v3
	v_add_co_ci_u32_e32 v10, vcc_lo, s14, v4, vcc_lo
	s_waitcnt vmcnt(0)
	global_store_b32 v[9:10], v7, off
	s_or_b32 exec_lo, exec_lo, s2
	s_and_saveexec_b32 s2, s38
	s_cbranch_execz .LBB12_14
.LBB12_17:                              ;   in Loop: Header=BB12_3 Depth=1
	v_add_co_u32 v9, vcc_lo, s21, v3
	v_add_co_ci_u32_e32 v10, vcc_lo, s22, v4, vcc_lo
	s_waitcnt vmcnt(0)
	global_store_b32 v[9:10], v6, off
	s_or_b32 exec_lo, exec_lo, s2
	s_and_saveexec_b32 s2, s0
	s_cbranch_execz .LBB12_2
.LBB12_18:                              ;   in Loop: Header=BB12_3 Depth=1
	v_add_co_u32 v3, vcc_lo, s23, v3
	v_add_co_ci_u32_e32 v4, vcc_lo, s24, v4, vcc_lo
	s_waitcnt vmcnt(0)
	global_store_b32 v[3:4], v5, off
	s_branch .LBB12_2
.LBB12_19:
	s_nop 0
	s_sendmsg sendmsg(MSG_DEALLOC_VGPRS)
	s_endpgm
	.section	.rodata,"a",@progbits
	.p2align	6, 0x0
	.amdhsa_kernel batched_transpose_4x256_dword
		.amdhsa_group_segment_fixed_size 0
		.amdhsa_private_segment_fixed_size 0
		.amdhsa_kernarg_size 48
		.amdhsa_user_sgpr_count 15
		.amdhsa_user_sgpr_dispatch_ptr 0
		.amdhsa_user_sgpr_queue_ptr 0
		.amdhsa_user_sgpr_kernarg_segment_ptr 1
		.amdhsa_user_sgpr_dispatch_id 0
		.amdhsa_user_sgpr_private_segment_size 0
		.amdhsa_wavefront_size32 1
		.amdhsa_uses_dynamic_stack 0
		.amdhsa_enable_private_segment 0
		.amdhsa_system_sgpr_workgroup_id_x 1
		.amdhsa_system_sgpr_workgroup_id_y 0
		.amdhsa_system_sgpr_workgroup_id_z 0
		.amdhsa_system_sgpr_workgroup_info 0
		.amdhsa_system_vgpr_workitem_id 0
		.amdhsa_next_free_vgpr 12
		.amdhsa_next_free_sgpr 40
		.amdhsa_reserve_vcc 1
		.amdhsa_float_round_mode_32 0
		.amdhsa_float_round_mode_16_64 0
		.amdhsa_float_denorm_mode_32 3
		.amdhsa_float_denorm_mode_16_64 3
		.amdhsa_dx10_clamp 1
		.amdhsa_ieee_mode 1
		.amdhsa_fp16_overflow 0
		.amdhsa_workgroup_processor_mode 1
		.amdhsa_memory_ordered 1
		.amdhsa_forward_progress 0
		.amdhsa_shared_vgpr_count 0
		.amdhsa_exception_fp_ieee_invalid_op 0
		.amdhsa_exception_fp_denorm_src 0
		.amdhsa_exception_fp_ieee_div_zero 0
		.amdhsa_exception_fp_ieee_overflow 0
		.amdhsa_exception_fp_ieee_underflow 0
		.amdhsa_exception_fp_ieee_inexact 0
		.amdhsa_exception_int_div_zero 0
	.end_amdhsa_kernel
	.text
.Lfunc_end12:
	.size	batched_transpose_4x256_dword, .Lfunc_end12-batched_transpose_4x256_dword
                                        ; -- End function
	.section	.AMDGPU.csdata,"",@progbits
; Kernel info:
; codeLenInByte = 800
; NumSgprs: 42
; NumVgprs: 12
; ScratchSize: 0
; MemoryBound: 0
; FloatMode: 240
; IeeeMode: 1
; LDSByteSize: 0 bytes/workgroup (compile time only)
; SGPRBlocks: 5
; VGPRBlocks: 1
; NumSGPRsForWavesPerEU: 42
; NumVGPRsForWavesPerEU: 12
; Occupancy: 16
; WaveLimiterHint : 0
; COMPUTE_PGM_RSRC2:SCRATCH_EN: 0
; COMPUTE_PGM_RSRC2:USER_SGPR: 15
; COMPUTE_PGM_RSRC2:TRAP_HANDLER: 0
; COMPUTE_PGM_RSRC2:TGID_X_EN: 1
; COMPUTE_PGM_RSRC2:TGID_Y_EN: 0
; COMPUTE_PGM_RSRC2:TGID_Z_EN: 0
; COMPUTE_PGM_RSRC2:TIDIG_COMP_CNT: 0
	.text
	.protected	batched_transpose_4x256_half ; -- Begin function batched_transpose_4x256_half
	.globl	batched_transpose_4x256_half
	.p2align	8
	.type	batched_transpose_4x256_half,@function
batched_transpose_4x256_half:           ; @batched_transpose_4x256_half
; %bb.0:
	s_load_b256 s[4:11], s[0:1], 0x10
	s_waitcnt lgkmcnt(0)
	s_cmp_ge_u32 s15, s7
	s_cbranch_scc1 .LBB13_19
; %bb.1:
	s_load_b128 s[16:19], s[0:1], 0x0
	s_mov_b32 s3, 0
	s_mov_b32 s12, s4
	;; [unrolled: 1-line block ×3, first 2 shown]
	s_add_i32 s0, s4, 0xff
	s_lshl_b64 s[20:21], s[12:13], 1
	s_add_i32 s31, s5, 3
	s_lshr_b32 s1, s0, 8
	v_mov_b32_e32 v2, 0
                                        ; implicit-def: $vgpr5
                                        ; implicit-def: $vgpr6
                                        ; implicit-def: $vgpr7
                                        ; implicit-def: $vgpr8
	s_waitcnt lgkmcnt(0)
	s_add_u32 s13, s16, s20
	s_addc_u32 s14, s17, s21
	s_lshl_b32 s2, s4, 1
	s_mov_b32 s20, s5
	s_lshl_b64 s[22:23], s[2:3], 1
	s_mul_i32 s2, s4, 3
	s_add_u32 s21, s16, s22
	s_addc_u32 s22, s17, s23
	s_lshl_b64 s[24:25], s[2:3], 1
	s_delay_alu instid0(SALU_CYCLE_1)
	s_add_u32 s23, s16, s24
	s_addc_u32 s24, s17, s25
	s_add_u32 s25, s18, 2
	s_addc_u32 s26, s19, 0
	;; [unrolled: 2-line block ×4, first 2 shown]
	s_and_b32 s0, s31, -4
	s_lshl_b32 s31, s15, 2
	s_sub_i32 s33, 0, s0
	s_lshl_b32 s34, s6, 2
	s_branch .LBB13_3
.LBB13_2:                               ;   in Loop: Header=BB13_3 Depth=1
	s_or_b32 exec_lo, exec_lo, s2
	s_add_i32 s15, s15, s6
	s_add_i32 s31, s31, s34
	s_cmp_lt_u32 s15, s7
	s_cbranch_scc0 .LBB13_19
.LBB13_3:                               ; =>This Inner Loop Header: Depth=1
	s_mul_hi_u32 s0, s10, s15
	s_delay_alu instid0(SALU_CYCLE_1) | instskip(NEXT) | instid1(SALU_CYCLE_1)
	s_add_i32 s0, s15, s0
	s_lshr_b32 s0, s0, s11
	s_delay_alu instid0(SALU_CYCLE_1) | instskip(NEXT) | instid1(SALU_CYCLE_1)
	s_mul_hi_u32 s2, s0, s8
	s_add_i32 s2, s0, s2
	s_delay_alu instid0(SALU_CYCLE_1) | instskip(NEXT) | instid1(SALU_CYCLE_1)
	s_lshr_b32 s35, s2, s9
	s_mul_i32 s2, s35, s1
	s_delay_alu instid0(SALU_CYCLE_1) | instskip(SKIP_3) | instid1(SALU_CYCLE_1)
	s_sub_i32 s2, s0, s2
	s_mul_i32 s0, s33, s0
	v_lshl_or_b32 v1, s2, 8, v0
	s_add_i32 s2, s31, s0
	s_cmp_lt_u32 s2, s5
	s_cselect_b32 s0, -1, 0
	s_delay_alu instid0(VALU_DEP_1) | instskip(SKIP_2) | instid1(VALU_DEP_2)
	v_mad_u64_u32 v[3:4], null, s35, s12, v[1:2]
	v_cmp_gt_u32_e32 vcc_lo, s4, v1
	s_and_b32 s36, s0, vcc_lo
	v_mad_u64_u32 v[9:10], null, v3, s20, s[2:3]
	s_delay_alu instid0(VALU_DEP_1) | instskip(NEXT) | instid1(VALU_DEP_1)
	v_mov_b32_e32 v3, v10
	v_mad_u64_u32 v[10:11], null, v4, s20, v[3:4]
	s_delay_alu instid0(VALU_DEP_1)
	v_lshlrev_b64 v[3:4], 1, v[9:10]
	s_and_saveexec_b32 s37, s36
	s_cbranch_execz .LBB13_5
; %bb.4:                                ;   in Loop: Header=BB13_3 Depth=1
	s_waitcnt vmcnt(0)
	s_delay_alu instid0(VALU_DEP_1) | instskip(NEXT) | instid1(VALU_DEP_1)
	v_add_co_u32 v8, s0, s18, v3
	v_add_co_ci_u32_e64 v9, s0, s19, v4, s0
	global_load_u16 v8, v[8:9], off
.LBB13_5:                               ;   in Loop: Header=BB13_3 Depth=1
	s_or_b32 exec_lo, exec_lo, s37
	s_add_i32 s0, s2, 1
	s_delay_alu instid0(SALU_CYCLE_1) | instskip(SKIP_1) | instid1(SALU_CYCLE_1)
	s_cmp_lt_u32 s0, s5
	s_cselect_b32 s0, -1, 0
	s_and_b32 s37, vcc_lo, s0
	s_delay_alu instid0(SALU_CYCLE_1)
	s_and_saveexec_b32 s38, s37
	s_cbranch_execz .LBB13_7
; %bb.6:                                ;   in Loop: Header=BB13_3 Depth=1
	v_add_co_u32 v9, s0, s25, v3
	s_delay_alu instid0(VALU_DEP_1)
	v_add_co_ci_u32_e64 v10, s0, s26, v4, s0
	global_load_u16 v7, v[9:10], off
.LBB13_7:                               ;   in Loop: Header=BB13_3 Depth=1
	s_or_b32 exec_lo, exec_lo, s38
	s_add_i32 s0, s2, 2
	s_delay_alu instid0(SALU_CYCLE_1) | instskip(SKIP_1) | instid1(SALU_CYCLE_1)
	s_cmp_lt_u32 s0, s5
	s_cselect_b32 s0, -1, 0
	s_and_b32 s38, vcc_lo, s0
	s_delay_alu instid0(SALU_CYCLE_1)
	s_and_saveexec_b32 s39, s38
	s_cbranch_execz .LBB13_9
; %bb.8:                                ;   in Loop: Header=BB13_3 Depth=1
	v_add_co_u32 v9, s0, s27, v3
	s_delay_alu instid0(VALU_DEP_1)
	v_add_co_ci_u32_e64 v10, s0, s28, v4, s0
	global_load_u16 v6, v[9:10], off
.LBB13_9:                               ;   in Loop: Header=BB13_3 Depth=1
	s_or_b32 exec_lo, exec_lo, s39
	s_add_i32 s0, s2, 3
	s_delay_alu instid0(SALU_CYCLE_1) | instskip(SKIP_1) | instid1(SALU_CYCLE_1)
	s_cmp_lt_u32 s0, s5
	s_cselect_b32 s0, -1, 0
	s_and_b32 s0, vcc_lo, s0
	s_delay_alu instid0(SALU_CYCLE_1)
	s_and_saveexec_b32 s39, s0
	s_cbranch_execz .LBB13_11
; %bb.10:                               ;   in Loop: Header=BB13_3 Depth=1
	v_add_co_u32 v3, vcc_lo, s29, v3
	v_add_co_ci_u32_e32 v4, vcc_lo, s30, v4, vcc_lo
	global_load_u16 v5, v[3:4], off
.LBB13_11:                              ;   in Loop: Header=BB13_3 Depth=1
	s_or_b32 exec_lo, exec_lo, s39
	s_mul_i32 s39, s35, s20
	s_delay_alu instid0(SALU_CYCLE_1) | instskip(NEXT) | instid1(SALU_CYCLE_1)
	s_add_u32 s2, s39, s2
	v_mad_u64_u32 v[3:4], null, s2, s12, v[1:2]
	s_mul_hi_u32 s2, s35, s20
	s_delay_alu instid0(SALU_CYCLE_1) | instskip(NEXT) | instid1(VALU_DEP_1)
	s_addc_u32 s2, s2, 0
	v_mov_b32_e32 v1, v4
	s_delay_alu instid0(VALU_DEP_1) | instskip(NEXT) | instid1(VALU_DEP_1)
	v_mad_u64_u32 v[9:10], null, s2, s12, v[1:2]
	v_mov_b32_e32 v4, v9
	s_delay_alu instid0(VALU_DEP_1)
	v_lshlrev_b64 v[3:4], 1, v[3:4]
	s_and_saveexec_b32 s2, s36
	s_cbranch_execnz .LBB13_15
; %bb.12:                               ;   in Loop: Header=BB13_3 Depth=1
	s_or_b32 exec_lo, exec_lo, s2
	s_and_saveexec_b32 s2, s37
	s_cbranch_execnz .LBB13_16
.LBB13_13:                              ;   in Loop: Header=BB13_3 Depth=1
	s_or_b32 exec_lo, exec_lo, s2
	s_and_saveexec_b32 s2, s38
	s_cbranch_execnz .LBB13_17
.LBB13_14:                              ;   in Loop: Header=BB13_3 Depth=1
	s_or_b32 exec_lo, exec_lo, s2
	s_and_saveexec_b32 s2, s0
	s_cbranch_execz .LBB13_2
	s_branch .LBB13_18
.LBB13_15:                              ;   in Loop: Header=BB13_3 Depth=1
	s_delay_alu instid0(VALU_DEP_1) | instskip(NEXT) | instid1(VALU_DEP_2)
	v_add_co_u32 v9, vcc_lo, s16, v3
	v_add_co_ci_u32_e32 v10, vcc_lo, s17, v4, vcc_lo
	s_waitcnt vmcnt(0)
	global_store_b16 v[9:10], v8, off
	s_or_b32 exec_lo, exec_lo, s2
	s_and_saveexec_b32 s2, s37
	s_cbranch_execz .LBB13_13
.LBB13_16:                              ;   in Loop: Header=BB13_3 Depth=1
	v_add_co_u32 v9, vcc_lo, s13, v3
	v_add_co_ci_u32_e32 v10, vcc_lo, s14, v4, vcc_lo
	s_waitcnt vmcnt(0)
	global_store_b16 v[9:10], v7, off
	s_or_b32 exec_lo, exec_lo, s2
	s_and_saveexec_b32 s2, s38
	s_cbranch_execz .LBB13_14
.LBB13_17:                              ;   in Loop: Header=BB13_3 Depth=1
	v_add_co_u32 v9, vcc_lo, s21, v3
	v_add_co_ci_u32_e32 v10, vcc_lo, s22, v4, vcc_lo
	s_waitcnt vmcnt(0)
	global_store_b16 v[9:10], v6, off
	s_or_b32 exec_lo, exec_lo, s2
	s_and_saveexec_b32 s2, s0
	s_cbranch_execz .LBB13_2
.LBB13_18:                              ;   in Loop: Header=BB13_3 Depth=1
	v_add_co_u32 v3, vcc_lo, s23, v3
	v_add_co_ci_u32_e32 v4, vcc_lo, s24, v4, vcc_lo
	s_waitcnt vmcnt(0)
	global_store_b16 v[3:4], v5, off
	s_branch .LBB13_2
.LBB13_19:
	s_nop 0
	s_sendmsg sendmsg(MSG_DEALLOC_VGPRS)
	s_endpgm
	.section	.rodata,"a",@progbits
	.p2align	6, 0x0
	.amdhsa_kernel batched_transpose_4x256_half
		.amdhsa_group_segment_fixed_size 0
		.amdhsa_private_segment_fixed_size 0
		.amdhsa_kernarg_size 48
		.amdhsa_user_sgpr_count 15
		.amdhsa_user_sgpr_dispatch_ptr 0
		.amdhsa_user_sgpr_queue_ptr 0
		.amdhsa_user_sgpr_kernarg_segment_ptr 1
		.amdhsa_user_sgpr_dispatch_id 0
		.amdhsa_user_sgpr_private_segment_size 0
		.amdhsa_wavefront_size32 1
		.amdhsa_uses_dynamic_stack 0
		.amdhsa_enable_private_segment 0
		.amdhsa_system_sgpr_workgroup_id_x 1
		.amdhsa_system_sgpr_workgroup_id_y 0
		.amdhsa_system_sgpr_workgroup_id_z 0
		.amdhsa_system_sgpr_workgroup_info 0
		.amdhsa_system_vgpr_workitem_id 0
		.amdhsa_next_free_vgpr 12
		.amdhsa_next_free_sgpr 40
		.amdhsa_reserve_vcc 1
		.amdhsa_float_round_mode_32 0
		.amdhsa_float_round_mode_16_64 0
		.amdhsa_float_denorm_mode_32 3
		.amdhsa_float_denorm_mode_16_64 3
		.amdhsa_dx10_clamp 1
		.amdhsa_ieee_mode 1
		.amdhsa_fp16_overflow 0
		.amdhsa_workgroup_processor_mode 1
		.amdhsa_memory_ordered 1
		.amdhsa_forward_progress 0
		.amdhsa_shared_vgpr_count 0
		.amdhsa_exception_fp_ieee_invalid_op 0
		.amdhsa_exception_fp_denorm_src 0
		.amdhsa_exception_fp_ieee_div_zero 0
		.amdhsa_exception_fp_ieee_overflow 0
		.amdhsa_exception_fp_ieee_underflow 0
		.amdhsa_exception_fp_ieee_inexact 0
		.amdhsa_exception_int_div_zero 0
	.end_amdhsa_kernel
	.text
.Lfunc_end13:
	.size	batched_transpose_4x256_half, .Lfunc_end13-batched_transpose_4x256_half
                                        ; -- End function
	.section	.AMDGPU.csdata,"",@progbits
; Kernel info:
; codeLenInByte = 800
; NumSgprs: 42
; NumVgprs: 12
; ScratchSize: 0
; MemoryBound: 0
; FloatMode: 240
; IeeeMode: 1
; LDSByteSize: 0 bytes/workgroup (compile time only)
; SGPRBlocks: 5
; VGPRBlocks: 1
; NumSGPRsForWavesPerEU: 42
; NumVGPRsForWavesPerEU: 12
; Occupancy: 16
; WaveLimiterHint : 0
; COMPUTE_PGM_RSRC2:SCRATCH_EN: 0
; COMPUTE_PGM_RSRC2:USER_SGPR: 15
; COMPUTE_PGM_RSRC2:TRAP_HANDLER: 0
; COMPUTE_PGM_RSRC2:TGID_X_EN: 1
; COMPUTE_PGM_RSRC2:TGID_Y_EN: 0
; COMPUTE_PGM_RSRC2:TGID_Z_EN: 0
; COMPUTE_PGM_RSRC2:TIDIG_COMP_CNT: 0
	.text
	.protected	batched_transpose_4x256_byte ; -- Begin function batched_transpose_4x256_byte
	.globl	batched_transpose_4x256_byte
	.p2align	8
	.type	batched_transpose_4x256_byte,@function
batched_transpose_4x256_byte:           ; @batched_transpose_4x256_byte
; %bb.0:
	s_load_b256 s[4:11], s[0:1], 0x10
	s_waitcnt lgkmcnt(0)
	s_cmp_ge_u32 s15, s7
	s_cbranch_scc1 .LBB14_19
; %bb.1:
	s_load_b128 s[16:19], s[0:1], 0x0
	s_add_i32 s0, s4, 0xff
	s_add_i32 s2, s5, 3
	s_lshr_b32 s12, s0, 8
	s_mul_i32 s22, s4, 3
	v_mov_b32_e32 v2, 0
	s_mov_b32 s3, 0
	s_mov_b32 s1, s5
                                        ; implicit-def: $vgpr5
                                        ; implicit-def: $vgpr6
                                        ; implicit-def: $vgpr7
                                        ; implicit-def: $vgpr8
	s_waitcnt lgkmcnt(0)
	s_add_u32 s13, s16, s4
	s_addc_u32 s14, s17, 0
	s_lshl_b32 s0, s4, 1
	s_delay_alu instid0(SALU_CYCLE_1)
	s_add_u32 s20, s16, s0
	s_addc_u32 s21, s17, 0
	s_add_u32 s22, s16, s22
	s_addc_u32 s23, s17, 0
	;; [unrolled: 2-line block ×5, first 2 shown]
	s_and_b32 s0, s2, -4
	s_lshl_b32 s30, s15, 2
	s_sub_i32 s31, 0, s0
	s_lshl_b32 s33, s6, 2
	s_branch .LBB14_3
.LBB14_2:                               ;   in Loop: Header=BB14_3 Depth=1
	s_or_b32 exec_lo, exec_lo, s2
	s_add_i32 s15, s15, s6
	s_add_i32 s30, s30, s33
	s_cmp_lt_u32 s15, s7
	s_cbranch_scc0 .LBB14_19
.LBB14_3:                               ; =>This Inner Loop Header: Depth=1
	s_mul_hi_u32 s0, s10, s15
	s_delay_alu instid0(SALU_CYCLE_1) | instskip(NEXT) | instid1(SALU_CYCLE_1)
	s_add_i32 s0, s15, s0
	s_lshr_b32 s0, s0, s11
	s_delay_alu instid0(SALU_CYCLE_1) | instskip(NEXT) | instid1(SALU_CYCLE_1)
	s_mul_hi_u32 s2, s0, s8
	s_add_i32 s2, s0, s2
	s_delay_alu instid0(SALU_CYCLE_1) | instskip(NEXT) | instid1(SALU_CYCLE_1)
	s_lshr_b32 s34, s2, s9
	s_mul_i32 s2, s34, s12
	s_delay_alu instid0(SALU_CYCLE_1) | instskip(SKIP_3) | instid1(SALU_CYCLE_1)
	s_sub_i32 s2, s0, s2
	s_mul_i32 s0, s31, s0
	v_lshl_or_b32 v1, s2, 8, v0
	s_add_i32 s2, s30, s0
	s_cmp_lt_u32 s2, s5
	s_cselect_b32 s0, -1, 0
	s_delay_alu instid0(VALU_DEP_1) | instskip(SKIP_2) | instid1(VALU_DEP_2)
	v_mad_u64_u32 v[9:10], null, s34, s4, v[1:2]
	v_cmp_gt_u32_e32 vcc_lo, s4, v1
	s_and_b32 s35, s0, vcc_lo
	v_mad_u64_u32 v[3:4], null, v9, s1, s[2:3]
	s_waitcnt vmcnt(0)
	s_delay_alu instid0(VALU_DEP_1) | instskip(NEXT) | instid1(VALU_DEP_1)
	v_mad_u64_u32 v[11:12], null, v10, s1, v[4:5]
	v_mov_b32_e32 v4, v11
	s_and_saveexec_b32 s36, s35
	s_cbranch_execz .LBB14_5
; %bb.4:                                ;   in Loop: Header=BB14_3 Depth=1
	s_delay_alu instid0(VALU_DEP_3) | instskip(NEXT) | instid1(VALU_DEP_1)
	v_add_co_u32 v8, s0, s18, v3
	v_add_co_ci_u32_e64 v9, s0, s19, v4, s0
	global_load_u8 v8, v[8:9], off
.LBB14_5:                               ;   in Loop: Header=BB14_3 Depth=1
	s_or_b32 exec_lo, exec_lo, s36
	s_add_i32 s0, s2, 1
	s_delay_alu instid0(SALU_CYCLE_1) | instskip(SKIP_1) | instid1(SALU_CYCLE_1)
	s_cmp_lt_u32 s0, s5
	s_cselect_b32 s0, -1, 0
	s_and_b32 s36, vcc_lo, s0
	s_delay_alu instid0(SALU_CYCLE_1)
	s_and_saveexec_b32 s37, s36
	s_cbranch_execz .LBB14_7
; %bb.6:                                ;   in Loop: Header=BB14_3 Depth=1
	v_add_co_u32 v9, s0, s24, v3
	s_delay_alu instid0(VALU_DEP_1)
	v_add_co_ci_u32_e64 v10, s0, s25, v4, s0
	global_load_u8 v7, v[9:10], off
.LBB14_7:                               ;   in Loop: Header=BB14_3 Depth=1
	s_or_b32 exec_lo, exec_lo, s37
	s_add_i32 s0, s2, 2
	s_delay_alu instid0(SALU_CYCLE_1) | instskip(SKIP_1) | instid1(SALU_CYCLE_1)
	s_cmp_lt_u32 s0, s5
	s_cselect_b32 s0, -1, 0
	s_and_b32 s37, vcc_lo, s0
	s_delay_alu instid0(SALU_CYCLE_1)
	s_and_saveexec_b32 s38, s37
	s_cbranch_execz .LBB14_9
; %bb.8:                                ;   in Loop: Header=BB14_3 Depth=1
	v_add_co_u32 v9, s0, s26, v3
	s_delay_alu instid0(VALU_DEP_1)
	v_add_co_ci_u32_e64 v10, s0, s27, v4, s0
	global_load_u8 v6, v[9:10], off
.LBB14_9:                               ;   in Loop: Header=BB14_3 Depth=1
	s_or_b32 exec_lo, exec_lo, s38
	s_add_i32 s0, s2, 3
	s_delay_alu instid0(SALU_CYCLE_1) | instskip(SKIP_1) | instid1(SALU_CYCLE_1)
	s_cmp_lt_u32 s0, s5
	s_cselect_b32 s0, -1, 0
	s_and_b32 s0, vcc_lo, s0
	s_delay_alu instid0(SALU_CYCLE_1)
	s_and_saveexec_b32 s38, s0
	s_cbranch_execz .LBB14_11
; %bb.10:                               ;   in Loop: Header=BB14_3 Depth=1
	v_add_co_u32 v3, vcc_lo, s28, v3
	v_add_co_ci_u32_e32 v4, vcc_lo, s29, v4, vcc_lo
	global_load_u8 v5, v[3:4], off
.LBB14_11:                              ;   in Loop: Header=BB14_3 Depth=1
	s_or_b32 exec_lo, exec_lo, s38
	s_mul_i32 s38, s34, s1
	s_delay_alu instid0(SALU_CYCLE_1) | instskip(NEXT) | instid1(SALU_CYCLE_1)
	s_add_u32 s2, s38, s2
	v_mad_u64_u32 v[3:4], null, s2, s4, v[1:2]
	s_mul_hi_u32 s2, s34, s1
	s_delay_alu instid0(SALU_CYCLE_1) | instskip(NEXT) | instid1(VALU_DEP_1)
	s_addc_u32 s2, s2, 0
	v_mov_b32_e32 v1, v4
	s_delay_alu instid0(VALU_DEP_1) | instskip(NEXT) | instid1(VALU_DEP_1)
	v_mad_u64_u32 v[9:10], null, s2, s4, v[1:2]
	v_mov_b32_e32 v1, v9
	s_and_saveexec_b32 s2, s35
	s_cbranch_execnz .LBB14_15
; %bb.12:                               ;   in Loop: Header=BB14_3 Depth=1
	s_or_b32 exec_lo, exec_lo, s2
	s_and_saveexec_b32 s2, s36
	s_cbranch_execnz .LBB14_16
.LBB14_13:                              ;   in Loop: Header=BB14_3 Depth=1
	s_or_b32 exec_lo, exec_lo, s2
	s_and_saveexec_b32 s2, s37
	s_cbranch_execnz .LBB14_17
.LBB14_14:                              ;   in Loop: Header=BB14_3 Depth=1
	s_or_b32 exec_lo, exec_lo, s2
	s_and_saveexec_b32 s2, s0
	s_cbranch_execz .LBB14_2
	s_branch .LBB14_18
.LBB14_15:                              ;   in Loop: Header=BB14_3 Depth=1
	v_add_co_u32 v9, vcc_lo, s16, v3
	s_delay_alu instid0(VALU_DEP_2)
	v_add_co_ci_u32_e32 v10, vcc_lo, s17, v1, vcc_lo
	s_waitcnt vmcnt(0)
	global_store_b8 v[9:10], v8, off
	s_or_b32 exec_lo, exec_lo, s2
	s_and_saveexec_b32 s2, s36
	s_cbranch_execz .LBB14_13
.LBB14_16:                              ;   in Loop: Header=BB14_3 Depth=1
	v_add_co_u32 v9, vcc_lo, s13, v3
	v_add_co_ci_u32_e32 v10, vcc_lo, s14, v1, vcc_lo
	s_waitcnt vmcnt(0)
	global_store_b8 v[9:10], v7, off
	s_or_b32 exec_lo, exec_lo, s2
	s_and_saveexec_b32 s2, s37
	s_cbranch_execz .LBB14_14
.LBB14_17:                              ;   in Loop: Header=BB14_3 Depth=1
	v_add_co_u32 v9, vcc_lo, s20, v3
	v_add_co_ci_u32_e32 v10, vcc_lo, s21, v1, vcc_lo
	s_waitcnt vmcnt(0)
	global_store_b8 v[9:10], v6, off
	s_or_b32 exec_lo, exec_lo, s2
	s_and_saveexec_b32 s2, s0
	s_cbranch_execz .LBB14_2
.LBB14_18:                              ;   in Loop: Header=BB14_3 Depth=1
	v_add_co_u32 v3, vcc_lo, s22, v3
	v_add_co_ci_u32_e32 v4, vcc_lo, s23, v1, vcc_lo
	s_waitcnt vmcnt(0)
	global_store_b8 v[3:4], v5, off
	s_branch .LBB14_2
.LBB14_19:
	s_nop 0
	s_sendmsg sendmsg(MSG_DEALLOC_VGPRS)
	s_endpgm
	.section	.rodata,"a",@progbits
	.p2align	6, 0x0
	.amdhsa_kernel batched_transpose_4x256_byte
		.amdhsa_group_segment_fixed_size 0
		.amdhsa_private_segment_fixed_size 0
		.amdhsa_kernarg_size 48
		.amdhsa_user_sgpr_count 15
		.amdhsa_user_sgpr_dispatch_ptr 0
		.amdhsa_user_sgpr_queue_ptr 0
		.amdhsa_user_sgpr_kernarg_segment_ptr 1
		.amdhsa_user_sgpr_dispatch_id 0
		.amdhsa_user_sgpr_private_segment_size 0
		.amdhsa_wavefront_size32 1
		.amdhsa_uses_dynamic_stack 0
		.amdhsa_enable_private_segment 0
		.amdhsa_system_sgpr_workgroup_id_x 1
		.amdhsa_system_sgpr_workgroup_id_y 0
		.amdhsa_system_sgpr_workgroup_id_z 0
		.amdhsa_system_sgpr_workgroup_info 0
		.amdhsa_system_vgpr_workitem_id 0
		.amdhsa_next_free_vgpr 13
		.amdhsa_next_free_sgpr 39
		.amdhsa_reserve_vcc 1
		.amdhsa_float_round_mode_32 0
		.amdhsa_float_round_mode_16_64 0
		.amdhsa_float_denorm_mode_32 3
		.amdhsa_float_denorm_mode_16_64 3
		.amdhsa_dx10_clamp 1
		.amdhsa_ieee_mode 1
		.amdhsa_fp16_overflow 0
		.amdhsa_workgroup_processor_mode 1
		.amdhsa_memory_ordered 1
		.amdhsa_forward_progress 0
		.amdhsa_shared_vgpr_count 0
		.amdhsa_exception_fp_ieee_invalid_op 0
		.amdhsa_exception_fp_denorm_src 0
		.amdhsa_exception_fp_ieee_div_zero 0
		.amdhsa_exception_fp_ieee_overflow 0
		.amdhsa_exception_fp_ieee_underflow 0
		.amdhsa_exception_fp_ieee_inexact 0
		.amdhsa_exception_int_div_zero 0
	.end_amdhsa_kernel
	.text
.Lfunc_end14:
	.size	batched_transpose_4x256_byte, .Lfunc_end14-batched_transpose_4x256_byte
                                        ; -- End function
	.section	.AMDGPU.csdata,"",@progbits
; Kernel info:
; codeLenInByte = 756
; NumSgprs: 41
; NumVgprs: 13
; ScratchSize: 0
; MemoryBound: 0
; FloatMode: 240
; IeeeMode: 1
; LDSByteSize: 0 bytes/workgroup (compile time only)
; SGPRBlocks: 5
; VGPRBlocks: 1
; NumSGPRsForWavesPerEU: 41
; NumVGPRsForWavesPerEU: 13
; Occupancy: 16
; WaveLimiterHint : 0
; COMPUTE_PGM_RSRC2:SCRATCH_EN: 0
; COMPUTE_PGM_RSRC2:USER_SGPR: 15
; COMPUTE_PGM_RSRC2:TRAP_HANDLER: 0
; COMPUTE_PGM_RSRC2:TGID_X_EN: 1
; COMPUTE_PGM_RSRC2:TGID_Y_EN: 0
; COMPUTE_PGM_RSRC2:TGID_Z_EN: 0
; COMPUTE_PGM_RSRC2:TIDIG_COMP_CNT: 0
	.text
	.protected	batched_transpose_256x4_dword ; -- Begin function batched_transpose_256x4_dword
	.globl	batched_transpose_256x4_dword
	.p2align	8
	.type	batched_transpose_256x4_dword,@function
batched_transpose_256x4_dword:          ; @batched_transpose_256x4_dword
; %bb.0:
	s_load_b256 s[4:11], s[0:1], 0x10
	s_waitcnt lgkmcnt(0)
	s_cmp_ge_u32 s15, s7
	s_cbranch_scc1 .LBB15_19
; %bb.1:
	s_load_b128 s[16:19], s[0:1], 0x0
	s_mov_b32 s3, 0
	s_mov_b32 s12, s5
	;; [unrolled: 1-line block ×3, first 2 shown]
	s_add_i32 s0, s4, 3
	s_lshl_b64 s[20:21], s[12:13], 2
	s_add_i32 s30, s5, 0xff
	s_lshr_b32 s1, s0, 2
	v_lshl_or_b32 v0, s15, 8, v0
	v_mov_b32_e32 v2, 0
                                        ; implicit-def: $vgpr5
                                        ; implicit-def: $vgpr6
                                        ; implicit-def: $vgpr7
                                        ; implicit-def: $vgpr8
	s_waitcnt lgkmcnt(0)
	s_add_u32 s13, s18, s20
	s_addc_u32 s14, s19, s21
	s_lshl_b32 s2, s5, 1
	s_delay_alu instid0(SALU_CYCLE_1) | instskip(SKIP_4) | instid1(SALU_CYCLE_1)
	s_lshl_b64 s[20:21], s[2:3], 2
	s_mul_i32 s2, s5, 3
	s_add_u32 s20, s18, s20
	s_addc_u32 s21, s19, s21
	s_lshl_b64 s[22:23], s[2:3], 2
	s_add_u32 s22, s18, s22
	s_addc_u32 s23, s19, s23
	s_add_u32 s24, s16, 4
	s_addc_u32 s25, s17, 0
	;; [unrolled: 2-line block ×4, first 2 shown]
	s_and_b32 s0, s30, 0xffffff00
	s_lshl_b32 s31, s6, 8
	s_sub_i32 s30, 0, s0
	s_branch .LBB15_3
.LBB15_2:                               ;   in Loop: Header=BB15_3 Depth=1
	s_or_b32 exec_lo, exec_lo, s2
	v_add_nc_u32_e32 v0, s31, v0
	s_add_i32 s15, s15, s6
	s_delay_alu instid0(SALU_CYCLE_1)
	s_cmp_lt_u32 s15, s7
	s_cbranch_scc0 .LBB15_19
.LBB15_3:                               ; =>This Inner Loop Header: Depth=1
	s_mul_hi_u32 s0, s10, s15
	s_delay_alu instid0(SALU_CYCLE_1) | instskip(NEXT) | instid1(SALU_CYCLE_1)
	s_add_i32 s0, s15, s0
	s_lshr_b32 s0, s0, s11
	s_delay_alu instid0(SALU_CYCLE_1) | instskip(SKIP_2) | instid1(SALU_CYCLE_1)
	s_mul_hi_u32 s2, s0, s8
	v_mad_u64_u32 v[3:4], null, s30, s0, v[0:1]
	s_add_i32 s2, s0, s2
	s_lshr_b32 s33, s2, s9
	s_delay_alu instid0(SALU_CYCLE_1) | instskip(NEXT) | instid1(SALU_CYCLE_1)
	s_mul_i32 s2, s33, s1
	s_sub_i32 s0, s0, s2
	s_delay_alu instid0(VALU_DEP_1) | instskip(SKIP_4) | instid1(SALU_CYCLE_1)
	v_mov_b32_e32 v1, v3
	s_lshl_b32 s2, s0, 2
	s_mul_i32 s0, s33, s4
	v_cmp_gt_u32_e32 vcc_lo, s5, v3
	s_add_u32 s0, s0, s2
	v_mad_u64_u32 v[9:10], null, s0, s12, v[1:2]
	s_mul_hi_u32 s0, s33, s4
	s_delay_alu instid0(SALU_CYCLE_1) | instskip(SKIP_1) | instid1(VALU_DEP_1)
	s_addc_u32 s0, s0, 0
	s_cmp_lt_u32 s2, s4
	v_mov_b32_e32 v4, v10
	s_waitcnt vmcnt(0)
	s_delay_alu instid0(VALU_DEP_1) | instskip(SKIP_1) | instid1(SALU_CYCLE_1)
	v_mad_u64_u32 v[10:11], null, s0, s12, v[4:5]
	s_cselect_b32 s0, -1, 0
	s_and_b32 s34, vcc_lo, s0
	s_delay_alu instid0(VALU_DEP_1)
	v_lshlrev_b64 v[3:4], 2, v[9:10]
	s_and_saveexec_b32 s35, s34
	s_cbranch_execz .LBB15_5
; %bb.4:                                ;   in Loop: Header=BB15_3 Depth=1
	s_delay_alu instid0(VALU_DEP_1) | instskip(NEXT) | instid1(VALU_DEP_1)
	v_add_co_u32 v8, s0, s18, v3
	v_add_co_ci_u32_e64 v9, s0, s19, v4, s0
	global_load_b32 v8, v[8:9], off
.LBB15_5:                               ;   in Loop: Header=BB15_3 Depth=1
	s_or_b32 exec_lo, exec_lo, s35
	s_or_b32 s0, s2, 1
	s_delay_alu instid0(SALU_CYCLE_1) | instskip(SKIP_1) | instid1(SALU_CYCLE_1)
	s_cmp_lt_u32 s0, s4
	s_cselect_b32 s0, -1, 0
	s_and_b32 s35, vcc_lo, s0
	s_delay_alu instid0(SALU_CYCLE_1)
	s_and_saveexec_b32 s36, s35
	s_cbranch_execz .LBB15_7
; %bb.6:                                ;   in Loop: Header=BB15_3 Depth=1
	v_add_co_u32 v9, s0, s13, v3
	s_delay_alu instid0(VALU_DEP_1)
	v_add_co_ci_u32_e64 v10, s0, s14, v4, s0
	global_load_b32 v7, v[9:10], off
.LBB15_7:                               ;   in Loop: Header=BB15_3 Depth=1
	s_or_b32 exec_lo, exec_lo, s36
	s_or_b32 s0, s2, 2
	s_delay_alu instid0(SALU_CYCLE_1) | instskip(SKIP_1) | instid1(SALU_CYCLE_1)
	s_cmp_lt_u32 s0, s4
	s_cselect_b32 s0, -1, 0
	s_and_b32 s36, vcc_lo, s0
	s_delay_alu instid0(SALU_CYCLE_1)
	s_and_saveexec_b32 s37, s36
	s_cbranch_execz .LBB15_9
; %bb.8:                                ;   in Loop: Header=BB15_3 Depth=1
	v_add_co_u32 v9, s0, s20, v3
	s_delay_alu instid0(VALU_DEP_1)
	v_add_co_ci_u32_e64 v10, s0, s21, v4, s0
	global_load_b32 v6, v[9:10], off
.LBB15_9:                               ;   in Loop: Header=BB15_3 Depth=1
	s_or_b32 exec_lo, exec_lo, s37
	s_or_b32 s0, s2, 3
	s_delay_alu instid0(SALU_CYCLE_1) | instskip(SKIP_1) | instid1(SALU_CYCLE_1)
	s_cmp_lt_u32 s0, s4
	s_cselect_b32 s0, -1, 0
	s_and_b32 s0, vcc_lo, s0
	s_delay_alu instid0(SALU_CYCLE_1)
	s_and_saveexec_b32 s37, s0
	s_cbranch_execz .LBB15_11
; %bb.10:                               ;   in Loop: Header=BB15_3 Depth=1
	v_add_co_u32 v3, vcc_lo, s22, v3
	v_add_co_ci_u32_e32 v4, vcc_lo, s23, v4, vcc_lo
	global_load_b32 v5, v[3:4], off
.LBB15_11:                              ;   in Loop: Header=BB15_3 Depth=1
	s_or_b32 exec_lo, exec_lo, s37
	v_mad_u64_u32 v[3:4], null, s33, s12, v[1:2]
	s_delay_alu instid0(VALU_DEP_1) | instskip(NEXT) | instid1(VALU_DEP_1)
	v_mad_u64_u32 v[9:10], null, v3, s4, s[2:3]
	v_mov_b32_e32 v1, v10
	s_delay_alu instid0(VALU_DEP_1) | instskip(NEXT) | instid1(VALU_DEP_1)
	v_mad_u64_u32 v[10:11], null, v4, s4, v[1:2]
	v_lshlrev_b64 v[3:4], 2, v[9:10]
	s_and_saveexec_b32 s2, s34
	s_cbranch_execnz .LBB15_15
; %bb.12:                               ;   in Loop: Header=BB15_3 Depth=1
	s_or_b32 exec_lo, exec_lo, s2
	s_and_saveexec_b32 s2, s35
	s_cbranch_execnz .LBB15_16
.LBB15_13:                              ;   in Loop: Header=BB15_3 Depth=1
	s_or_b32 exec_lo, exec_lo, s2
	s_and_saveexec_b32 s2, s36
	s_cbranch_execnz .LBB15_17
.LBB15_14:                              ;   in Loop: Header=BB15_3 Depth=1
	s_or_b32 exec_lo, exec_lo, s2
	s_and_saveexec_b32 s2, s0
	s_cbranch_execz .LBB15_2
	s_branch .LBB15_18
.LBB15_15:                              ;   in Loop: Header=BB15_3 Depth=1
	s_delay_alu instid0(VALU_DEP_1) | instskip(NEXT) | instid1(VALU_DEP_2)
	v_add_co_u32 v9, vcc_lo, s16, v3
	v_add_co_ci_u32_e32 v10, vcc_lo, s17, v4, vcc_lo
	s_waitcnt vmcnt(0)
	global_store_b32 v[9:10], v8, off
	s_or_b32 exec_lo, exec_lo, s2
	s_and_saveexec_b32 s2, s35
	s_cbranch_execz .LBB15_13
.LBB15_16:                              ;   in Loop: Header=BB15_3 Depth=1
	v_add_co_u32 v9, vcc_lo, s24, v3
	v_add_co_ci_u32_e32 v10, vcc_lo, s25, v4, vcc_lo
	s_waitcnt vmcnt(0)
	global_store_b32 v[9:10], v7, off
	s_or_b32 exec_lo, exec_lo, s2
	s_and_saveexec_b32 s2, s36
	s_cbranch_execz .LBB15_14
.LBB15_17:                              ;   in Loop: Header=BB15_3 Depth=1
	v_add_co_u32 v9, vcc_lo, s26, v3
	v_add_co_ci_u32_e32 v10, vcc_lo, s27, v4, vcc_lo
	s_waitcnt vmcnt(0)
	global_store_b32 v[9:10], v6, off
	s_or_b32 exec_lo, exec_lo, s2
	s_and_saveexec_b32 s2, s0
	s_cbranch_execz .LBB15_2
.LBB15_18:                              ;   in Loop: Header=BB15_3 Depth=1
	v_add_co_u32 v3, vcc_lo, s28, v3
	v_add_co_ci_u32_e32 v4, vcc_lo, s29, v4, vcc_lo
	s_waitcnt vmcnt(0)
	global_store_b32 v[3:4], v5, off
	s_branch .LBB15_2
.LBB15_19:
	s_nop 0
	s_sendmsg sendmsg(MSG_DEALLOC_VGPRS)
	s_endpgm
	.section	.rodata,"a",@progbits
	.p2align	6, 0x0
	.amdhsa_kernel batched_transpose_256x4_dword
		.amdhsa_group_segment_fixed_size 0
		.amdhsa_private_segment_fixed_size 0
		.amdhsa_kernarg_size 48
		.amdhsa_user_sgpr_count 15
		.amdhsa_user_sgpr_dispatch_ptr 0
		.amdhsa_user_sgpr_queue_ptr 0
		.amdhsa_user_sgpr_kernarg_segment_ptr 1
		.amdhsa_user_sgpr_dispatch_id 0
		.amdhsa_user_sgpr_private_segment_size 0
		.amdhsa_wavefront_size32 1
		.amdhsa_uses_dynamic_stack 0
		.amdhsa_enable_private_segment 0
		.amdhsa_system_sgpr_workgroup_id_x 1
		.amdhsa_system_sgpr_workgroup_id_y 0
		.amdhsa_system_sgpr_workgroup_id_z 0
		.amdhsa_system_sgpr_workgroup_info 0
		.amdhsa_system_vgpr_workitem_id 0
		.amdhsa_next_free_vgpr 12
		.amdhsa_next_free_sgpr 38
		.amdhsa_reserve_vcc 1
		.amdhsa_float_round_mode_32 0
		.amdhsa_float_round_mode_16_64 0
		.amdhsa_float_denorm_mode_32 3
		.amdhsa_float_denorm_mode_16_64 3
		.amdhsa_dx10_clamp 1
		.amdhsa_ieee_mode 1
		.amdhsa_fp16_overflow 0
		.amdhsa_workgroup_processor_mode 1
		.amdhsa_memory_ordered 1
		.amdhsa_forward_progress 0
		.amdhsa_shared_vgpr_count 0
		.amdhsa_exception_fp_ieee_invalid_op 0
		.amdhsa_exception_fp_denorm_src 0
		.amdhsa_exception_fp_ieee_div_zero 0
		.amdhsa_exception_fp_ieee_overflow 0
		.amdhsa_exception_fp_ieee_underflow 0
		.amdhsa_exception_fp_ieee_inexact 0
		.amdhsa_exception_int_div_zero 0
	.end_amdhsa_kernel
	.text
.Lfunc_end15:
	.size	batched_transpose_256x4_dword, .Lfunc_end15-batched_transpose_256x4_dword
                                        ; -- End function
	.section	.AMDGPU.csdata,"",@progbits
; Kernel info:
; codeLenInByte = 796
; NumSgprs: 40
; NumVgprs: 12
; ScratchSize: 0
; MemoryBound: 0
; FloatMode: 240
; IeeeMode: 1
; LDSByteSize: 0 bytes/workgroup (compile time only)
; SGPRBlocks: 4
; VGPRBlocks: 1
; NumSGPRsForWavesPerEU: 40
; NumVGPRsForWavesPerEU: 12
; Occupancy: 16
; WaveLimiterHint : 0
; COMPUTE_PGM_RSRC2:SCRATCH_EN: 0
; COMPUTE_PGM_RSRC2:USER_SGPR: 15
; COMPUTE_PGM_RSRC2:TRAP_HANDLER: 0
; COMPUTE_PGM_RSRC2:TGID_X_EN: 1
; COMPUTE_PGM_RSRC2:TGID_Y_EN: 0
; COMPUTE_PGM_RSRC2:TGID_Z_EN: 0
; COMPUTE_PGM_RSRC2:TIDIG_COMP_CNT: 0
	.text
	.protected	batched_transpose_256x4_half ; -- Begin function batched_transpose_256x4_half
	.globl	batched_transpose_256x4_half
	.p2align	8
	.type	batched_transpose_256x4_half,@function
batched_transpose_256x4_half:           ; @batched_transpose_256x4_half
; %bb.0:
	s_load_b256 s[4:11], s[0:1], 0x10
	s_waitcnt lgkmcnt(0)
	s_cmp_ge_u32 s15, s7
	s_cbranch_scc1 .LBB16_19
; %bb.1:
	s_load_b128 s[16:19], s[0:1], 0x0
	s_mov_b32 s3, 0
	s_mov_b32 s12, s5
	;; [unrolled: 1-line block ×3, first 2 shown]
	s_add_i32 s0, s4, 3
	s_lshl_b64 s[20:21], s[12:13], 1
	s_add_i32 s30, s5, 0xff
	s_lshr_b32 s1, s0, 2
	v_lshl_or_b32 v0, s15, 8, v0
	v_mov_b32_e32 v2, 0
                                        ; implicit-def: $vgpr5
                                        ; implicit-def: $vgpr6
                                        ; implicit-def: $vgpr7
                                        ; implicit-def: $vgpr8
	s_waitcnt lgkmcnt(0)
	s_add_u32 s13, s18, s20
	s_addc_u32 s14, s19, s21
	s_lshl_b32 s2, s5, 1
	s_delay_alu instid0(SALU_CYCLE_1) | instskip(SKIP_4) | instid1(SALU_CYCLE_1)
	s_lshl_b64 s[20:21], s[2:3], 1
	s_mul_i32 s2, s5, 3
	s_add_u32 s20, s18, s20
	s_addc_u32 s21, s19, s21
	s_lshl_b64 s[22:23], s[2:3], 1
	s_add_u32 s22, s18, s22
	s_addc_u32 s23, s19, s23
	s_add_u32 s24, s16, 2
	s_addc_u32 s25, s17, 0
	;; [unrolled: 2-line block ×4, first 2 shown]
	s_and_b32 s0, s30, 0xffffff00
	s_lshl_b32 s31, s6, 8
	s_sub_i32 s30, 0, s0
	s_branch .LBB16_3
.LBB16_2:                               ;   in Loop: Header=BB16_3 Depth=1
	s_or_b32 exec_lo, exec_lo, s2
	v_add_nc_u32_e32 v0, s31, v0
	s_add_i32 s15, s15, s6
	s_delay_alu instid0(SALU_CYCLE_1)
	s_cmp_lt_u32 s15, s7
	s_cbranch_scc0 .LBB16_19
.LBB16_3:                               ; =>This Inner Loop Header: Depth=1
	s_mul_hi_u32 s0, s10, s15
	s_delay_alu instid0(SALU_CYCLE_1) | instskip(NEXT) | instid1(SALU_CYCLE_1)
	s_add_i32 s0, s15, s0
	s_lshr_b32 s0, s0, s11
	s_delay_alu instid0(SALU_CYCLE_1) | instskip(SKIP_2) | instid1(SALU_CYCLE_1)
	s_mul_hi_u32 s2, s0, s8
	v_mad_u64_u32 v[3:4], null, s30, s0, v[0:1]
	s_add_i32 s2, s0, s2
	s_lshr_b32 s33, s2, s9
	s_delay_alu instid0(SALU_CYCLE_1) | instskip(NEXT) | instid1(SALU_CYCLE_1)
	s_mul_i32 s2, s33, s1
	s_sub_i32 s0, s0, s2
	s_delay_alu instid0(VALU_DEP_1) | instskip(SKIP_4) | instid1(SALU_CYCLE_1)
	v_mov_b32_e32 v1, v3
	s_lshl_b32 s2, s0, 2
	s_mul_i32 s0, s33, s4
	v_cmp_gt_u32_e32 vcc_lo, s5, v3
	s_add_u32 s0, s0, s2
	v_mad_u64_u32 v[9:10], null, s0, s12, v[1:2]
	s_mul_hi_u32 s0, s33, s4
	s_delay_alu instid0(SALU_CYCLE_1) | instskip(SKIP_1) | instid1(VALU_DEP_1)
	s_addc_u32 s0, s0, 0
	s_cmp_lt_u32 s2, s4
	v_mov_b32_e32 v4, v10
	s_waitcnt vmcnt(0)
	s_delay_alu instid0(VALU_DEP_1) | instskip(SKIP_1) | instid1(SALU_CYCLE_1)
	v_mad_u64_u32 v[10:11], null, s0, s12, v[4:5]
	s_cselect_b32 s0, -1, 0
	s_and_b32 s34, vcc_lo, s0
	s_delay_alu instid0(VALU_DEP_1)
	v_lshlrev_b64 v[3:4], 1, v[9:10]
	s_and_saveexec_b32 s35, s34
	s_cbranch_execz .LBB16_5
; %bb.4:                                ;   in Loop: Header=BB16_3 Depth=1
	s_delay_alu instid0(VALU_DEP_1) | instskip(NEXT) | instid1(VALU_DEP_1)
	v_add_co_u32 v8, s0, s18, v3
	v_add_co_ci_u32_e64 v9, s0, s19, v4, s0
	global_load_u16 v8, v[8:9], off
.LBB16_5:                               ;   in Loop: Header=BB16_3 Depth=1
	s_or_b32 exec_lo, exec_lo, s35
	s_or_b32 s0, s2, 1
	s_delay_alu instid0(SALU_CYCLE_1) | instskip(SKIP_1) | instid1(SALU_CYCLE_1)
	s_cmp_lt_u32 s0, s4
	s_cselect_b32 s0, -1, 0
	s_and_b32 s35, vcc_lo, s0
	s_delay_alu instid0(SALU_CYCLE_1)
	s_and_saveexec_b32 s36, s35
	s_cbranch_execz .LBB16_7
; %bb.6:                                ;   in Loop: Header=BB16_3 Depth=1
	v_add_co_u32 v9, s0, s13, v3
	s_delay_alu instid0(VALU_DEP_1)
	v_add_co_ci_u32_e64 v10, s0, s14, v4, s0
	global_load_u16 v7, v[9:10], off
.LBB16_7:                               ;   in Loop: Header=BB16_3 Depth=1
	s_or_b32 exec_lo, exec_lo, s36
	s_or_b32 s0, s2, 2
	s_delay_alu instid0(SALU_CYCLE_1) | instskip(SKIP_1) | instid1(SALU_CYCLE_1)
	s_cmp_lt_u32 s0, s4
	s_cselect_b32 s0, -1, 0
	s_and_b32 s36, vcc_lo, s0
	s_delay_alu instid0(SALU_CYCLE_1)
	s_and_saveexec_b32 s37, s36
	s_cbranch_execz .LBB16_9
; %bb.8:                                ;   in Loop: Header=BB16_3 Depth=1
	v_add_co_u32 v9, s0, s20, v3
	s_delay_alu instid0(VALU_DEP_1)
	v_add_co_ci_u32_e64 v10, s0, s21, v4, s0
	global_load_u16 v6, v[9:10], off
.LBB16_9:                               ;   in Loop: Header=BB16_3 Depth=1
	s_or_b32 exec_lo, exec_lo, s37
	s_or_b32 s0, s2, 3
	s_delay_alu instid0(SALU_CYCLE_1) | instskip(SKIP_1) | instid1(SALU_CYCLE_1)
	s_cmp_lt_u32 s0, s4
	s_cselect_b32 s0, -1, 0
	s_and_b32 s0, vcc_lo, s0
	s_delay_alu instid0(SALU_CYCLE_1)
	s_and_saveexec_b32 s37, s0
	s_cbranch_execz .LBB16_11
; %bb.10:                               ;   in Loop: Header=BB16_3 Depth=1
	v_add_co_u32 v3, vcc_lo, s22, v3
	v_add_co_ci_u32_e32 v4, vcc_lo, s23, v4, vcc_lo
	global_load_u16 v5, v[3:4], off
.LBB16_11:                              ;   in Loop: Header=BB16_3 Depth=1
	s_or_b32 exec_lo, exec_lo, s37
	v_mad_u64_u32 v[3:4], null, s33, s12, v[1:2]
	s_delay_alu instid0(VALU_DEP_1) | instskip(NEXT) | instid1(VALU_DEP_1)
	v_mad_u64_u32 v[9:10], null, v3, s4, s[2:3]
	v_mov_b32_e32 v1, v10
	s_delay_alu instid0(VALU_DEP_1) | instskip(NEXT) | instid1(VALU_DEP_1)
	v_mad_u64_u32 v[10:11], null, v4, s4, v[1:2]
	v_lshlrev_b64 v[3:4], 1, v[9:10]
	s_and_saveexec_b32 s2, s34
	s_cbranch_execnz .LBB16_15
; %bb.12:                               ;   in Loop: Header=BB16_3 Depth=1
	s_or_b32 exec_lo, exec_lo, s2
	s_and_saveexec_b32 s2, s35
	s_cbranch_execnz .LBB16_16
.LBB16_13:                              ;   in Loop: Header=BB16_3 Depth=1
	s_or_b32 exec_lo, exec_lo, s2
	s_and_saveexec_b32 s2, s36
	s_cbranch_execnz .LBB16_17
.LBB16_14:                              ;   in Loop: Header=BB16_3 Depth=1
	s_or_b32 exec_lo, exec_lo, s2
	s_and_saveexec_b32 s2, s0
	s_cbranch_execz .LBB16_2
	s_branch .LBB16_18
.LBB16_15:                              ;   in Loop: Header=BB16_3 Depth=1
	s_delay_alu instid0(VALU_DEP_1) | instskip(NEXT) | instid1(VALU_DEP_2)
	v_add_co_u32 v9, vcc_lo, s16, v3
	v_add_co_ci_u32_e32 v10, vcc_lo, s17, v4, vcc_lo
	s_waitcnt vmcnt(0)
	global_store_b16 v[9:10], v8, off
	s_or_b32 exec_lo, exec_lo, s2
	s_and_saveexec_b32 s2, s35
	s_cbranch_execz .LBB16_13
.LBB16_16:                              ;   in Loop: Header=BB16_3 Depth=1
	v_add_co_u32 v9, vcc_lo, s24, v3
	v_add_co_ci_u32_e32 v10, vcc_lo, s25, v4, vcc_lo
	s_waitcnt vmcnt(0)
	global_store_b16 v[9:10], v7, off
	s_or_b32 exec_lo, exec_lo, s2
	s_and_saveexec_b32 s2, s36
	s_cbranch_execz .LBB16_14
.LBB16_17:                              ;   in Loop: Header=BB16_3 Depth=1
	v_add_co_u32 v9, vcc_lo, s26, v3
	v_add_co_ci_u32_e32 v10, vcc_lo, s27, v4, vcc_lo
	s_waitcnt vmcnt(0)
	global_store_b16 v[9:10], v6, off
	s_or_b32 exec_lo, exec_lo, s2
	s_and_saveexec_b32 s2, s0
	s_cbranch_execz .LBB16_2
.LBB16_18:                              ;   in Loop: Header=BB16_3 Depth=1
	v_add_co_u32 v3, vcc_lo, s28, v3
	v_add_co_ci_u32_e32 v4, vcc_lo, s29, v4, vcc_lo
	s_waitcnt vmcnt(0)
	global_store_b16 v[3:4], v5, off
	s_branch .LBB16_2
.LBB16_19:
	s_nop 0
	s_sendmsg sendmsg(MSG_DEALLOC_VGPRS)
	s_endpgm
	.section	.rodata,"a",@progbits
	.p2align	6, 0x0
	.amdhsa_kernel batched_transpose_256x4_half
		.amdhsa_group_segment_fixed_size 0
		.amdhsa_private_segment_fixed_size 0
		.amdhsa_kernarg_size 48
		.amdhsa_user_sgpr_count 15
		.amdhsa_user_sgpr_dispatch_ptr 0
		.amdhsa_user_sgpr_queue_ptr 0
		.amdhsa_user_sgpr_kernarg_segment_ptr 1
		.amdhsa_user_sgpr_dispatch_id 0
		.amdhsa_user_sgpr_private_segment_size 0
		.amdhsa_wavefront_size32 1
		.amdhsa_uses_dynamic_stack 0
		.amdhsa_enable_private_segment 0
		.amdhsa_system_sgpr_workgroup_id_x 1
		.amdhsa_system_sgpr_workgroup_id_y 0
		.amdhsa_system_sgpr_workgroup_id_z 0
		.amdhsa_system_sgpr_workgroup_info 0
		.amdhsa_system_vgpr_workitem_id 0
		.amdhsa_next_free_vgpr 12
		.amdhsa_next_free_sgpr 38
		.amdhsa_reserve_vcc 1
		.amdhsa_float_round_mode_32 0
		.amdhsa_float_round_mode_16_64 0
		.amdhsa_float_denorm_mode_32 3
		.amdhsa_float_denorm_mode_16_64 3
		.amdhsa_dx10_clamp 1
		.amdhsa_ieee_mode 1
		.amdhsa_fp16_overflow 0
		.amdhsa_workgroup_processor_mode 1
		.amdhsa_memory_ordered 1
		.amdhsa_forward_progress 0
		.amdhsa_shared_vgpr_count 0
		.amdhsa_exception_fp_ieee_invalid_op 0
		.amdhsa_exception_fp_denorm_src 0
		.amdhsa_exception_fp_ieee_div_zero 0
		.amdhsa_exception_fp_ieee_overflow 0
		.amdhsa_exception_fp_ieee_underflow 0
		.amdhsa_exception_fp_ieee_inexact 0
		.amdhsa_exception_int_div_zero 0
	.end_amdhsa_kernel
	.text
.Lfunc_end16:
	.size	batched_transpose_256x4_half, .Lfunc_end16-batched_transpose_256x4_half
                                        ; -- End function
	.section	.AMDGPU.csdata,"",@progbits
; Kernel info:
; codeLenInByte = 796
; NumSgprs: 40
; NumVgprs: 12
; ScratchSize: 0
; MemoryBound: 0
; FloatMode: 240
; IeeeMode: 1
; LDSByteSize: 0 bytes/workgroup (compile time only)
; SGPRBlocks: 4
; VGPRBlocks: 1
; NumSGPRsForWavesPerEU: 40
; NumVGPRsForWavesPerEU: 12
; Occupancy: 16
; WaveLimiterHint : 0
; COMPUTE_PGM_RSRC2:SCRATCH_EN: 0
; COMPUTE_PGM_RSRC2:USER_SGPR: 15
; COMPUTE_PGM_RSRC2:TRAP_HANDLER: 0
; COMPUTE_PGM_RSRC2:TGID_X_EN: 1
; COMPUTE_PGM_RSRC2:TGID_Y_EN: 0
; COMPUTE_PGM_RSRC2:TGID_Z_EN: 0
; COMPUTE_PGM_RSRC2:TIDIG_COMP_CNT: 0
	.text
	.protected	batched_transpose_256x4_byte ; -- Begin function batched_transpose_256x4_byte
	.globl	batched_transpose_256x4_byte
	.p2align	8
	.type	batched_transpose_256x4_byte,@function
batched_transpose_256x4_byte:           ; @batched_transpose_256x4_byte
; %bb.0:
	s_load_b256 s[4:11], s[0:1], 0x10
	s_waitcnt lgkmcnt(0)
	s_cmp_ge_u32 s15, s7
	s_cbranch_scc1 .LBB17_19
; %bb.1:
	s_load_b128 s[16:19], s[0:1], 0x0
	s_add_i32 s0, s4, 3
	s_add_i32 s2, s5, 0xff
	s_lshr_b32 s1, s0, 2
	s_mul_i32 s21, s5, 3
	v_lshl_or_b32 v0, s15, 8, v0
	v_mov_b32_e32 v2, 0
	s_mov_b32 s3, 0
	s_mov_b32 s29, s5
                                        ; implicit-def: $vgpr5
                                        ; implicit-def: $vgpr6
                                        ; implicit-def: $vgpr7
                                        ; implicit-def: $vgpr8
	s_waitcnt lgkmcnt(0)
	s_add_u32 s12, s18, s5
	s_addc_u32 s13, s19, 0
	s_lshl_b32 s0, s5, 1
	s_delay_alu instid0(SALU_CYCLE_1)
	s_add_u32 s14, s18, s0
	s_addc_u32 s20, s19, 0
	s_add_u32 s21, s18, s21
	s_addc_u32 s22, s19, 0
	;; [unrolled: 2-line block ×5, first 2 shown]
	s_and_b32 s0, s2, 0xffffff00
	s_lshl_b32 s31, s6, 8
	s_sub_i32 s30, 0, s0
	s_branch .LBB17_3
.LBB17_2:                               ;   in Loop: Header=BB17_3 Depth=1
	s_or_b32 exec_lo, exec_lo, s2
	v_add_nc_u32_e32 v0, s31, v0
	s_add_i32 s15, s15, s6
	s_delay_alu instid0(SALU_CYCLE_1)
	s_cmp_lt_u32 s15, s7
	s_cbranch_scc0 .LBB17_19
.LBB17_3:                               ; =>This Inner Loop Header: Depth=1
	s_mul_hi_u32 s0, s10, s15
	s_delay_alu instid0(SALU_CYCLE_1) | instskip(NEXT) | instid1(SALU_CYCLE_1)
	s_add_i32 s0, s15, s0
	s_lshr_b32 s0, s0, s11
	s_delay_alu instid0(SALU_CYCLE_1) | instskip(SKIP_2) | instid1(SALU_CYCLE_1)
	s_mul_hi_u32 s2, s0, s8
	v_mad_u64_u32 v[9:10], null, s30, s0, v[0:1]
	s_add_i32 s2, s0, s2
	s_lshr_b32 s33, s2, s9
	s_delay_alu instid0(SALU_CYCLE_1) | instskip(NEXT) | instid1(SALU_CYCLE_1)
	s_mul_i32 s2, s33, s1
	s_sub_i32 s0, s0, s2
	s_delay_alu instid0(VALU_DEP_1) | instskip(SKIP_4) | instid1(SALU_CYCLE_1)
	v_mov_b32_e32 v1, v9
	s_lshl_b32 s2, s0, 2
	s_mul_i32 s0, s33, s4
	v_cmp_gt_u32_e32 vcc_lo, s5, v9
	s_add_u32 s0, s0, s2
	v_mad_u64_u32 v[3:4], null, s0, s29, v[1:2]
	s_mul_hi_u32 s0, s33, s4
	s_delay_alu instid0(SALU_CYCLE_1) | instskip(SKIP_2) | instid1(VALU_DEP_1)
	s_addc_u32 s0, s0, 0
	s_cmp_lt_u32 s2, s4
	s_waitcnt vmcnt(0)
	v_mad_u64_u32 v[10:11], null, s0, s29, v[4:5]
	s_cselect_b32 s0, -1, 0
	s_delay_alu instid0(SALU_CYCLE_1) | instskip(NEXT) | instid1(VALU_DEP_1)
	s_and_b32 s34, vcc_lo, s0
	v_mov_b32_e32 v4, v10
	s_and_saveexec_b32 s35, s34
	s_cbranch_execz .LBB17_5
; %bb.4:                                ;   in Loop: Header=BB17_3 Depth=1
	v_add_co_u32 v8, s0, s18, v3
	s_delay_alu instid0(VALU_DEP_1)
	v_add_co_ci_u32_e64 v9, s0, s19, v4, s0
	global_load_u8 v8, v[8:9], off
.LBB17_5:                               ;   in Loop: Header=BB17_3 Depth=1
	s_or_b32 exec_lo, exec_lo, s35
	s_or_b32 s0, s2, 1
	s_delay_alu instid0(SALU_CYCLE_1) | instskip(SKIP_1) | instid1(SALU_CYCLE_1)
	s_cmp_lt_u32 s0, s4
	s_cselect_b32 s0, -1, 0
	s_and_b32 s35, vcc_lo, s0
	s_delay_alu instid0(SALU_CYCLE_1)
	s_and_saveexec_b32 s36, s35
	s_cbranch_execz .LBB17_7
; %bb.6:                                ;   in Loop: Header=BB17_3 Depth=1
	v_add_co_u32 v9, s0, s12, v3
	s_delay_alu instid0(VALU_DEP_1)
	v_add_co_ci_u32_e64 v10, s0, s13, v4, s0
	global_load_u8 v7, v[9:10], off
.LBB17_7:                               ;   in Loop: Header=BB17_3 Depth=1
	s_or_b32 exec_lo, exec_lo, s36
	s_or_b32 s0, s2, 2
	s_delay_alu instid0(SALU_CYCLE_1) | instskip(SKIP_1) | instid1(SALU_CYCLE_1)
	s_cmp_lt_u32 s0, s4
	s_cselect_b32 s0, -1, 0
	s_and_b32 s36, vcc_lo, s0
	s_delay_alu instid0(SALU_CYCLE_1)
	;; [unrolled: 15-line block ×3, first 2 shown]
	s_and_saveexec_b32 s37, s0
	s_cbranch_execz .LBB17_11
; %bb.10:                               ;   in Loop: Header=BB17_3 Depth=1
	v_add_co_u32 v3, vcc_lo, s21, v3
	v_add_co_ci_u32_e32 v4, vcc_lo, s22, v4, vcc_lo
	global_load_u8 v5, v[3:4], off
.LBB17_11:                              ;   in Loop: Header=BB17_3 Depth=1
	s_or_b32 exec_lo, exec_lo, s37
	v_mad_u64_u32 v[9:10], null, s33, s29, v[1:2]
	s_delay_alu instid0(VALU_DEP_1) | instskip(NEXT) | instid1(VALU_DEP_1)
	v_mad_u64_u32 v[3:4], null, v9, s4, s[2:3]
	v_mov_b32_e32 v1, v4
	s_delay_alu instid0(VALU_DEP_1) | instskip(NEXT) | instid1(VALU_DEP_1)
	v_mad_u64_u32 v[11:12], null, v10, s4, v[1:2]
	v_mov_b32_e32 v1, v11
	s_and_saveexec_b32 s2, s34
	s_cbranch_execnz .LBB17_15
; %bb.12:                               ;   in Loop: Header=BB17_3 Depth=1
	s_or_b32 exec_lo, exec_lo, s2
	s_and_saveexec_b32 s2, s35
	s_cbranch_execnz .LBB17_16
.LBB17_13:                              ;   in Loop: Header=BB17_3 Depth=1
	s_or_b32 exec_lo, exec_lo, s2
	s_and_saveexec_b32 s2, s36
	s_cbranch_execnz .LBB17_17
.LBB17_14:                              ;   in Loop: Header=BB17_3 Depth=1
	s_or_b32 exec_lo, exec_lo, s2
	s_and_saveexec_b32 s2, s0
	s_cbranch_execz .LBB17_2
	s_branch .LBB17_18
.LBB17_15:                              ;   in Loop: Header=BB17_3 Depth=1
	s_delay_alu instid0(VALU_DEP_4) | instskip(NEXT) | instid1(VALU_DEP_2)
	v_add_co_u32 v9, vcc_lo, s16, v3
	v_add_co_ci_u32_e32 v10, vcc_lo, s17, v1, vcc_lo
	s_waitcnt vmcnt(0)
	global_store_b8 v[9:10], v8, off
	s_or_b32 exec_lo, exec_lo, s2
	s_and_saveexec_b32 s2, s35
	s_cbranch_execz .LBB17_13
.LBB17_16:                              ;   in Loop: Header=BB17_3 Depth=1
	v_add_co_u32 v9, vcc_lo, s23, v3
	v_add_co_ci_u32_e32 v10, vcc_lo, s24, v1, vcc_lo
	s_waitcnt vmcnt(0)
	global_store_b8 v[9:10], v7, off
	s_or_b32 exec_lo, exec_lo, s2
	s_and_saveexec_b32 s2, s36
	s_cbranch_execz .LBB17_14
.LBB17_17:                              ;   in Loop: Header=BB17_3 Depth=1
	v_add_co_u32 v9, vcc_lo, s25, v3
	v_add_co_ci_u32_e32 v10, vcc_lo, s26, v1, vcc_lo
	s_waitcnt vmcnt(0)
	global_store_b8 v[9:10], v6, off
	s_or_b32 exec_lo, exec_lo, s2
	s_and_saveexec_b32 s2, s0
	s_cbranch_execz .LBB17_2
.LBB17_18:                              ;   in Loop: Header=BB17_3 Depth=1
	v_add_co_u32 v3, vcc_lo, s27, v3
	v_add_co_ci_u32_e32 v4, vcc_lo, s28, v1, vcc_lo
	s_waitcnt vmcnt(0)
	global_store_b8 v[3:4], v5, off
	s_branch .LBB17_2
.LBB17_19:
	s_nop 0
	s_sendmsg sendmsg(MSG_DEALLOC_VGPRS)
	s_endpgm
	.section	.rodata,"a",@progbits
	.p2align	6, 0x0
	.amdhsa_kernel batched_transpose_256x4_byte
		.amdhsa_group_segment_fixed_size 0
		.amdhsa_private_segment_fixed_size 0
		.amdhsa_kernarg_size 48
		.amdhsa_user_sgpr_count 15
		.amdhsa_user_sgpr_dispatch_ptr 0
		.amdhsa_user_sgpr_queue_ptr 0
		.amdhsa_user_sgpr_kernarg_segment_ptr 1
		.amdhsa_user_sgpr_dispatch_id 0
		.amdhsa_user_sgpr_private_segment_size 0
		.amdhsa_wavefront_size32 1
		.amdhsa_uses_dynamic_stack 0
		.amdhsa_enable_private_segment 0
		.amdhsa_system_sgpr_workgroup_id_x 1
		.amdhsa_system_sgpr_workgroup_id_y 0
		.amdhsa_system_sgpr_workgroup_id_z 0
		.amdhsa_system_sgpr_workgroup_info 0
		.amdhsa_system_vgpr_workitem_id 0
		.amdhsa_next_free_vgpr 13
		.amdhsa_next_free_sgpr 38
		.amdhsa_reserve_vcc 1
		.amdhsa_float_round_mode_32 0
		.amdhsa_float_round_mode_16_64 0
		.amdhsa_float_denorm_mode_32 3
		.amdhsa_float_denorm_mode_16_64 3
		.amdhsa_dx10_clamp 1
		.amdhsa_ieee_mode 1
		.amdhsa_fp16_overflow 0
		.amdhsa_workgroup_processor_mode 1
		.amdhsa_memory_ordered 1
		.amdhsa_forward_progress 0
		.amdhsa_shared_vgpr_count 0
		.amdhsa_exception_fp_ieee_invalid_op 0
		.amdhsa_exception_fp_denorm_src 0
		.amdhsa_exception_fp_ieee_div_zero 0
		.amdhsa_exception_fp_ieee_overflow 0
		.amdhsa_exception_fp_ieee_underflow 0
		.amdhsa_exception_fp_ieee_inexact 0
		.amdhsa_exception_int_div_zero 0
	.end_amdhsa_kernel
	.text
.Lfunc_end17:
	.size	batched_transpose_256x4_byte, .Lfunc_end17-batched_transpose_256x4_byte
                                        ; -- End function
	.section	.AMDGPU.csdata,"",@progbits
; Kernel info:
; codeLenInByte = 764
; NumSgprs: 40
; NumVgprs: 13
; ScratchSize: 0
; MemoryBound: 0
; FloatMode: 240
; IeeeMode: 1
; LDSByteSize: 0 bytes/workgroup (compile time only)
; SGPRBlocks: 4
; VGPRBlocks: 1
; NumSGPRsForWavesPerEU: 40
; NumVGPRsForWavesPerEU: 13
; Occupancy: 16
; WaveLimiterHint : 0
; COMPUTE_PGM_RSRC2:SCRATCH_EN: 0
; COMPUTE_PGM_RSRC2:USER_SGPR: 15
; COMPUTE_PGM_RSRC2:TRAP_HANDLER: 0
; COMPUTE_PGM_RSRC2:TGID_X_EN: 1
; COMPUTE_PGM_RSRC2:TGID_Y_EN: 0
; COMPUTE_PGM_RSRC2:TGID_Z_EN: 0
; COMPUTE_PGM_RSRC2:TIDIG_COMP_CNT: 0
	.text
	.protected	batched_transpose_4x128_dword ; -- Begin function batched_transpose_4x128_dword
	.globl	batched_transpose_4x128_dword
	.p2align	8
	.type	batched_transpose_4x128_dword,@function
batched_transpose_4x128_dword:          ; @batched_transpose_4x128_dword
; %bb.0:
	s_load_b256 s[4:11], s[0:1], 0x10
	s_waitcnt lgkmcnt(0)
	s_cmp_ge_u32 s15, s7
	s_cbranch_scc1 .LBB18_11
; %bb.1:
	s_load_b128 s[16:19], s[0:1], 0x0
	s_mov_b32 s3, 0
	s_lshl_b32 s2, s4, 1
	s_add_i32 s0, s4, 0x7f
	v_lshrrev_b32_e32 v2, 7, v0
	s_lshl_b64 s[2:3], s[2:3], 2
	s_add_i32 s14, s5, 3
	s_lshr_b32 s1, s0, 7
	v_and_b32_e32 v7, 0x7f, v0
	v_mov_b32_e32 v1, 0
	v_lshl_or_b32 v2, s15, 2, v2
                                        ; implicit-def: $vgpr8
                                        ; implicit-def: $vgpr9
	s_waitcnt lgkmcnt(0)
	s_add_u32 s2, s16, s2
	s_addc_u32 s3, s17, s3
	s_add_u32 s12, s18, 8
	s_addc_u32 s13, s19, 0
	s_and_b32 s0, s14, -4
	s_mov_b32 s14, s5
	s_sub_i32 s20, 0, s0
	s_lshl_b32 s21, s6, 2
	s_branch .LBB18_3
.LBB18_2:                               ;   in Loop: Header=BB18_3 Depth=1
	s_or_b32 exec_lo, exec_lo, s22
	v_add_nc_u32_e32 v2, s21, v2
	s_add_i32 s15, s15, s6
	s_delay_alu instid0(SALU_CYCLE_1)
	s_cmp_lt_u32 s15, s7
	s_cbranch_scc0 .LBB18_11
.LBB18_3:                               ; =>This Inner Loop Header: Depth=1
	s_mul_hi_u32 s0, s10, s15
	s_delay_alu instid0(SALU_CYCLE_1) | instskip(NEXT) | instid1(SALU_CYCLE_1)
	s_add_i32 s0, s15, s0
	s_lshr_b32 s0, s0, s11
	s_delay_alu instid0(SALU_CYCLE_1) | instskip(SKIP_4) | instid1(SALU_CYCLE_1)
	s_mul_hi_u32 s22, s0, s8
	v_mad_u64_u32 v[3:4], null, s20, s0, v[2:3]
	s_add_i32 s22, s0, s22
	v_mov_b32_e32 v4, v1
	s_lshr_b32 s22, s22, s9
	s_mul_i32 s23, s22, s1
	s_delay_alu instid0(SALU_CYCLE_1) | instskip(NEXT) | instid1(VALU_DEP_2)
	s_sub_i32 s23, s0, s23
	v_cmp_gt_u32_e64 s0, s5, v3
	v_lshl_or_b32 v0, s23, 7, v7
	s_delay_alu instid0(VALU_DEP_1) | instskip(SKIP_1) | instid1(VALU_DEP_4)
	v_mad_u64_u32 v[5:6], null, s22, s4, v[0:1]
	v_cmp_gt_u32_e32 vcc_lo, s4, v0
	s_and_b32 s23, s0, vcc_lo
	s_delay_alu instid0(VALU_DEP_2) | instskip(NEXT) | instid1(VALU_DEP_1)
	v_mad_u64_u32 v[10:11], null, v5, s14, v[3:4]
	v_mov_b32_e32 v5, v11
	s_delay_alu instid0(VALU_DEP_1) | instskip(NEXT) | instid1(VALU_DEP_1)
	v_mad_u64_u32 v[11:12], null, v6, s14, v[5:6]
	v_lshlrev_b64 v[5:6], 2, v[10:11]
	s_and_saveexec_b32 s24, s23
	s_cbranch_execz .LBB18_5
; %bb.4:                                ;   in Loop: Header=BB18_3 Depth=1
	s_waitcnt vmcnt(0)
	s_delay_alu instid0(VALU_DEP_1) | instskip(NEXT) | instid1(VALU_DEP_1)
	v_add_co_u32 v9, s0, s18, v5
	v_add_co_ci_u32_e64 v10, s0, s19, v6, s0
	global_load_b32 v9, v[9:10], off
.LBB18_5:                               ;   in Loop: Header=BB18_3 Depth=1
	s_or_b32 exec_lo, exec_lo, s24
	v_add_nc_u32_e32 v10, 2, v3
	s_delay_alu instid0(VALU_DEP_1) | instskip(NEXT) | instid1(VALU_DEP_1)
	v_cmp_gt_u32_e64 s0, s5, v10
	s_and_b32 s0, s0, vcc_lo
	s_delay_alu instid0(SALU_CYCLE_1)
	s_and_saveexec_b32 s24, s0
	s_cbranch_execz .LBB18_7
; %bb.6:                                ;   in Loop: Header=BB18_3 Depth=1
	v_add_co_u32 v5, vcc_lo, s12, v5
	v_add_co_ci_u32_e32 v6, vcc_lo, s13, v6, vcc_lo
	global_load_b32 v8, v[5:6], off
.LBB18_7:                               ;   in Loop: Header=BB18_3 Depth=1
	s_or_b32 exec_lo, exec_lo, s24
	v_mad_u64_u32 v[5:6], null, s22, s14, v[3:4]
	s_delay_alu instid0(VALU_DEP_1) | instskip(NEXT) | instid1(VALU_DEP_1)
	v_mad_u64_u32 v[3:4], null, v5, s4, v[0:1]
	v_mov_b32_e32 v0, v4
	s_delay_alu instid0(VALU_DEP_1) | instskip(NEXT) | instid1(VALU_DEP_1)
	v_mad_u64_u32 v[4:5], null, v6, s4, v[0:1]
	v_lshlrev_b64 v[3:4], 2, v[3:4]
	s_and_saveexec_b32 s22, s23
	s_cbranch_execz .LBB18_9
; %bb.8:                                ;   in Loop: Header=BB18_3 Depth=1
	s_delay_alu instid0(VALU_DEP_1) | instskip(NEXT) | instid1(VALU_DEP_2)
	v_add_co_u32 v5, vcc_lo, s16, v3
	v_add_co_ci_u32_e32 v6, vcc_lo, s17, v4, vcc_lo
	s_waitcnt vmcnt(0)
	global_store_b32 v[5:6], v9, off
.LBB18_9:                               ;   in Loop: Header=BB18_3 Depth=1
	s_or_b32 exec_lo, exec_lo, s22
	s_and_saveexec_b32 s22, s0
	s_cbranch_execz .LBB18_2
; %bb.10:                               ;   in Loop: Header=BB18_3 Depth=1
	v_add_co_u32 v3, vcc_lo, s2, v3
	v_add_co_ci_u32_e32 v4, vcc_lo, s3, v4, vcc_lo
	s_waitcnt vmcnt(0)
	global_store_b32 v[3:4], v8, off
	s_branch .LBB18_2
.LBB18_11:
	s_nop 0
	s_sendmsg sendmsg(MSG_DEALLOC_VGPRS)
	s_endpgm
	.section	.rodata,"a",@progbits
	.p2align	6, 0x0
	.amdhsa_kernel batched_transpose_4x128_dword
		.amdhsa_group_segment_fixed_size 0
		.amdhsa_private_segment_fixed_size 0
		.amdhsa_kernarg_size 48
		.amdhsa_user_sgpr_count 15
		.amdhsa_user_sgpr_dispatch_ptr 0
		.amdhsa_user_sgpr_queue_ptr 0
		.amdhsa_user_sgpr_kernarg_segment_ptr 1
		.amdhsa_user_sgpr_dispatch_id 0
		.amdhsa_user_sgpr_private_segment_size 0
		.amdhsa_wavefront_size32 1
		.amdhsa_uses_dynamic_stack 0
		.amdhsa_enable_private_segment 0
		.amdhsa_system_sgpr_workgroup_id_x 1
		.amdhsa_system_sgpr_workgroup_id_y 0
		.amdhsa_system_sgpr_workgroup_id_z 0
		.amdhsa_system_sgpr_workgroup_info 0
		.amdhsa_system_vgpr_workitem_id 0
		.amdhsa_next_free_vgpr 13
		.amdhsa_next_free_sgpr 25
		.amdhsa_reserve_vcc 1
		.amdhsa_float_round_mode_32 0
		.amdhsa_float_round_mode_16_64 0
		.amdhsa_float_denorm_mode_32 3
		.amdhsa_float_denorm_mode_16_64 3
		.amdhsa_dx10_clamp 1
		.amdhsa_ieee_mode 1
		.amdhsa_fp16_overflow 0
		.amdhsa_workgroup_processor_mode 1
		.amdhsa_memory_ordered 1
		.amdhsa_forward_progress 0
		.amdhsa_shared_vgpr_count 0
		.amdhsa_exception_fp_ieee_invalid_op 0
		.amdhsa_exception_fp_denorm_src 0
		.amdhsa_exception_fp_ieee_div_zero 0
		.amdhsa_exception_fp_ieee_overflow 0
		.amdhsa_exception_fp_ieee_underflow 0
		.amdhsa_exception_fp_ieee_inexact 0
		.amdhsa_exception_int_div_zero 0
	.end_amdhsa_kernel
	.text
.Lfunc_end18:
	.size	batched_transpose_4x128_dword, .Lfunc_end18-batched_transpose_4x128_dword
                                        ; -- End function
	.section	.AMDGPU.csdata,"",@progbits
; Kernel info:
; codeLenInByte = 504
; NumSgprs: 27
; NumVgprs: 13
; ScratchSize: 0
; MemoryBound: 0
; FloatMode: 240
; IeeeMode: 1
; LDSByteSize: 0 bytes/workgroup (compile time only)
; SGPRBlocks: 3
; VGPRBlocks: 1
; NumSGPRsForWavesPerEU: 27
; NumVGPRsForWavesPerEU: 13
; Occupancy: 16
; WaveLimiterHint : 0
; COMPUTE_PGM_RSRC2:SCRATCH_EN: 0
; COMPUTE_PGM_RSRC2:USER_SGPR: 15
; COMPUTE_PGM_RSRC2:TRAP_HANDLER: 0
; COMPUTE_PGM_RSRC2:TGID_X_EN: 1
; COMPUTE_PGM_RSRC2:TGID_Y_EN: 0
; COMPUTE_PGM_RSRC2:TGID_Z_EN: 0
; COMPUTE_PGM_RSRC2:TIDIG_COMP_CNT: 0
	.text
	.protected	batched_transpose_4x128_half ; -- Begin function batched_transpose_4x128_half
	.globl	batched_transpose_4x128_half
	.p2align	8
	.type	batched_transpose_4x128_half,@function
batched_transpose_4x128_half:           ; @batched_transpose_4x128_half
; %bb.0:
	s_load_b256 s[4:11], s[0:1], 0x10
	s_waitcnt lgkmcnt(0)
	s_cmp_ge_u32 s15, s7
	s_cbranch_scc1 .LBB19_11
; %bb.1:
	s_load_b128 s[16:19], s[0:1], 0x0
	s_mov_b32 s3, 0
	s_lshl_b32 s2, s4, 1
	s_add_i32 s0, s4, 0x7f
	v_lshrrev_b32_e32 v2, 7, v0
	s_lshl_b64 s[2:3], s[2:3], 1
	s_add_i32 s14, s5, 3
	s_lshr_b32 s1, s0, 7
	v_and_b32_e32 v7, 0x7f, v0
	v_mov_b32_e32 v1, 0
	v_lshl_or_b32 v2, s15, 2, v2
                                        ; implicit-def: $vgpr8
                                        ; implicit-def: $vgpr9
	s_waitcnt lgkmcnt(0)
	s_add_u32 s2, s16, s2
	s_addc_u32 s3, s17, s3
	s_add_u32 s12, s18, 4
	s_addc_u32 s13, s19, 0
	s_and_b32 s0, s14, -4
	s_mov_b32 s14, s5
	s_sub_i32 s20, 0, s0
	s_lshl_b32 s21, s6, 2
	s_branch .LBB19_3
.LBB19_2:                               ;   in Loop: Header=BB19_3 Depth=1
	s_or_b32 exec_lo, exec_lo, s22
	v_add_nc_u32_e32 v2, s21, v2
	s_add_i32 s15, s15, s6
	s_delay_alu instid0(SALU_CYCLE_1)
	s_cmp_lt_u32 s15, s7
	s_cbranch_scc0 .LBB19_11
.LBB19_3:                               ; =>This Inner Loop Header: Depth=1
	s_mul_hi_u32 s0, s10, s15
	s_delay_alu instid0(SALU_CYCLE_1) | instskip(NEXT) | instid1(SALU_CYCLE_1)
	s_add_i32 s0, s15, s0
	s_lshr_b32 s0, s0, s11
	s_delay_alu instid0(SALU_CYCLE_1) | instskip(SKIP_4) | instid1(SALU_CYCLE_1)
	s_mul_hi_u32 s22, s0, s8
	v_mad_u64_u32 v[3:4], null, s20, s0, v[2:3]
	s_add_i32 s22, s0, s22
	v_mov_b32_e32 v4, v1
	s_lshr_b32 s22, s22, s9
	s_mul_i32 s23, s22, s1
	s_delay_alu instid0(SALU_CYCLE_1) | instskip(NEXT) | instid1(VALU_DEP_2)
	s_sub_i32 s23, s0, s23
	v_cmp_gt_u32_e64 s0, s5, v3
	v_lshl_or_b32 v0, s23, 7, v7
	s_delay_alu instid0(VALU_DEP_1) | instskip(SKIP_1) | instid1(VALU_DEP_4)
	v_mad_u64_u32 v[5:6], null, s22, s4, v[0:1]
	v_cmp_gt_u32_e32 vcc_lo, s4, v0
	s_and_b32 s23, s0, vcc_lo
	s_delay_alu instid0(VALU_DEP_2) | instskip(NEXT) | instid1(VALU_DEP_1)
	v_mad_u64_u32 v[10:11], null, v5, s14, v[3:4]
	v_mov_b32_e32 v5, v11
	s_delay_alu instid0(VALU_DEP_1) | instskip(NEXT) | instid1(VALU_DEP_1)
	v_mad_u64_u32 v[11:12], null, v6, s14, v[5:6]
	v_lshlrev_b64 v[5:6], 1, v[10:11]
	s_and_saveexec_b32 s24, s23
	s_cbranch_execz .LBB19_5
; %bb.4:                                ;   in Loop: Header=BB19_3 Depth=1
	s_waitcnt vmcnt(0)
	s_delay_alu instid0(VALU_DEP_1) | instskip(NEXT) | instid1(VALU_DEP_1)
	v_add_co_u32 v9, s0, s18, v5
	v_add_co_ci_u32_e64 v10, s0, s19, v6, s0
	global_load_u16 v9, v[9:10], off
.LBB19_5:                               ;   in Loop: Header=BB19_3 Depth=1
	s_or_b32 exec_lo, exec_lo, s24
	v_add_nc_u32_e32 v10, 2, v3
	s_delay_alu instid0(VALU_DEP_1) | instskip(NEXT) | instid1(VALU_DEP_1)
	v_cmp_gt_u32_e64 s0, s5, v10
	s_and_b32 s0, s0, vcc_lo
	s_delay_alu instid0(SALU_CYCLE_1)
	s_and_saveexec_b32 s24, s0
	s_cbranch_execz .LBB19_7
; %bb.6:                                ;   in Loop: Header=BB19_3 Depth=1
	v_add_co_u32 v5, vcc_lo, s12, v5
	v_add_co_ci_u32_e32 v6, vcc_lo, s13, v6, vcc_lo
	global_load_u16 v8, v[5:6], off
.LBB19_7:                               ;   in Loop: Header=BB19_3 Depth=1
	s_or_b32 exec_lo, exec_lo, s24
	v_mad_u64_u32 v[5:6], null, s22, s14, v[3:4]
	s_delay_alu instid0(VALU_DEP_1) | instskip(NEXT) | instid1(VALU_DEP_1)
	v_mad_u64_u32 v[3:4], null, v5, s4, v[0:1]
	v_mov_b32_e32 v0, v4
	s_delay_alu instid0(VALU_DEP_1) | instskip(NEXT) | instid1(VALU_DEP_1)
	v_mad_u64_u32 v[4:5], null, v6, s4, v[0:1]
	v_lshlrev_b64 v[3:4], 1, v[3:4]
	s_and_saveexec_b32 s22, s23
	s_cbranch_execz .LBB19_9
; %bb.8:                                ;   in Loop: Header=BB19_3 Depth=1
	s_delay_alu instid0(VALU_DEP_1) | instskip(NEXT) | instid1(VALU_DEP_2)
	v_add_co_u32 v5, vcc_lo, s16, v3
	v_add_co_ci_u32_e32 v6, vcc_lo, s17, v4, vcc_lo
	s_waitcnt vmcnt(0)
	global_store_b16 v[5:6], v9, off
.LBB19_9:                               ;   in Loop: Header=BB19_3 Depth=1
	s_or_b32 exec_lo, exec_lo, s22
	s_and_saveexec_b32 s22, s0
	s_cbranch_execz .LBB19_2
; %bb.10:                               ;   in Loop: Header=BB19_3 Depth=1
	v_add_co_u32 v3, vcc_lo, s2, v3
	v_add_co_ci_u32_e32 v4, vcc_lo, s3, v4, vcc_lo
	s_waitcnt vmcnt(0)
	global_store_b16 v[3:4], v8, off
	s_branch .LBB19_2
.LBB19_11:
	s_nop 0
	s_sendmsg sendmsg(MSG_DEALLOC_VGPRS)
	s_endpgm
	.section	.rodata,"a",@progbits
	.p2align	6, 0x0
	.amdhsa_kernel batched_transpose_4x128_half
		.amdhsa_group_segment_fixed_size 0
		.amdhsa_private_segment_fixed_size 0
		.amdhsa_kernarg_size 48
		.amdhsa_user_sgpr_count 15
		.amdhsa_user_sgpr_dispatch_ptr 0
		.amdhsa_user_sgpr_queue_ptr 0
		.amdhsa_user_sgpr_kernarg_segment_ptr 1
		.amdhsa_user_sgpr_dispatch_id 0
		.amdhsa_user_sgpr_private_segment_size 0
		.amdhsa_wavefront_size32 1
		.amdhsa_uses_dynamic_stack 0
		.amdhsa_enable_private_segment 0
		.amdhsa_system_sgpr_workgroup_id_x 1
		.amdhsa_system_sgpr_workgroup_id_y 0
		.amdhsa_system_sgpr_workgroup_id_z 0
		.amdhsa_system_sgpr_workgroup_info 0
		.amdhsa_system_vgpr_workitem_id 0
		.amdhsa_next_free_vgpr 13
		.amdhsa_next_free_sgpr 25
		.amdhsa_reserve_vcc 1
		.amdhsa_float_round_mode_32 0
		.amdhsa_float_round_mode_16_64 0
		.amdhsa_float_denorm_mode_32 3
		.amdhsa_float_denorm_mode_16_64 3
		.amdhsa_dx10_clamp 1
		.amdhsa_ieee_mode 1
		.amdhsa_fp16_overflow 0
		.amdhsa_workgroup_processor_mode 1
		.amdhsa_memory_ordered 1
		.amdhsa_forward_progress 0
		.amdhsa_shared_vgpr_count 0
		.amdhsa_exception_fp_ieee_invalid_op 0
		.amdhsa_exception_fp_denorm_src 0
		.amdhsa_exception_fp_ieee_div_zero 0
		.amdhsa_exception_fp_ieee_overflow 0
		.amdhsa_exception_fp_ieee_underflow 0
		.amdhsa_exception_fp_ieee_inexact 0
		.amdhsa_exception_int_div_zero 0
	.end_amdhsa_kernel
	.text
.Lfunc_end19:
	.size	batched_transpose_4x128_half, .Lfunc_end19-batched_transpose_4x128_half
                                        ; -- End function
	.section	.AMDGPU.csdata,"",@progbits
; Kernel info:
; codeLenInByte = 504
; NumSgprs: 27
; NumVgprs: 13
; ScratchSize: 0
; MemoryBound: 0
; FloatMode: 240
; IeeeMode: 1
; LDSByteSize: 0 bytes/workgroup (compile time only)
; SGPRBlocks: 3
; VGPRBlocks: 1
; NumSGPRsForWavesPerEU: 27
; NumVGPRsForWavesPerEU: 13
; Occupancy: 16
; WaveLimiterHint : 0
; COMPUTE_PGM_RSRC2:SCRATCH_EN: 0
; COMPUTE_PGM_RSRC2:USER_SGPR: 15
; COMPUTE_PGM_RSRC2:TRAP_HANDLER: 0
; COMPUTE_PGM_RSRC2:TGID_X_EN: 1
; COMPUTE_PGM_RSRC2:TGID_Y_EN: 0
; COMPUTE_PGM_RSRC2:TGID_Z_EN: 0
; COMPUTE_PGM_RSRC2:TIDIG_COMP_CNT: 0
	.text
	.protected	batched_transpose_4x128_byte ; -- Begin function batched_transpose_4x128_byte
	.globl	batched_transpose_4x128_byte
	.p2align	8
	.type	batched_transpose_4x128_byte,@function
batched_transpose_4x128_byte:           ; @batched_transpose_4x128_byte
; %bb.0:
	s_load_b256 s[4:11], s[0:1], 0x10
	s_waitcnt lgkmcnt(0)
	s_cmp_ge_u32 s15, s7
	s_cbranch_scc1 .LBB20_11
; %bb.1:
	s_load_b128 s[16:19], s[0:1], 0x0
	s_add_i32 s0, s4, 0x7f
	v_lshrrev_b32_e32 v2, 7, v0
	s_lshl_b32 s2, s4, 1
	s_add_i32 s14, s5, 3
	s_lshr_b32 s1, s0, 7
	v_and_b32_e32 v7, 0x7f, v0
	v_mov_b32_e32 v1, 0
	v_lshl_or_b32 v2, s15, 2, v2
                                        ; implicit-def: $vgpr8
                                        ; implicit-def: $vgpr9
	s_waitcnt lgkmcnt(0)
	s_add_u32 s2, s16, s2
	s_addc_u32 s3, s17, 0
	s_add_u32 s12, s18, 2
	s_addc_u32 s13, s19, 0
	s_and_b32 s0, s14, -4
	s_mov_b32 s14, s5
	s_sub_i32 s20, 0, s0
	s_lshl_b32 s21, s6, 2
	s_branch .LBB20_3
.LBB20_2:                               ;   in Loop: Header=BB20_3 Depth=1
	s_or_b32 exec_lo, exec_lo, s22
	v_add_nc_u32_e32 v2, s21, v2
	s_add_i32 s15, s15, s6
	s_delay_alu instid0(SALU_CYCLE_1)
	s_cmp_lt_u32 s15, s7
	s_cbranch_scc0 .LBB20_11
.LBB20_3:                               ; =>This Inner Loop Header: Depth=1
	s_mul_hi_u32 s0, s10, s15
	s_delay_alu instid0(SALU_CYCLE_1) | instskip(NEXT) | instid1(SALU_CYCLE_1)
	s_add_i32 s0, s15, s0
	s_lshr_b32 s0, s0, s11
	s_delay_alu instid0(SALU_CYCLE_1) | instskip(SKIP_4) | instid1(SALU_CYCLE_1)
	s_mul_hi_u32 s22, s0, s8
	v_mad_u64_u32 v[3:4], null, s20, s0, v[2:3]
	s_add_i32 s22, s0, s22
	v_mov_b32_e32 v4, v1
	s_lshr_b32 s22, s22, s9
	s_mul_i32 s23, s22, s1
	s_delay_alu instid0(SALU_CYCLE_1) | instskip(NEXT) | instid1(VALU_DEP_2)
	s_sub_i32 s23, s0, s23
	v_cmp_gt_u32_e64 s0, s5, v3
	v_lshl_or_b32 v0, s23, 7, v7
	s_delay_alu instid0(VALU_DEP_1) | instskip(SKIP_1) | instid1(VALU_DEP_4)
	v_mad_u64_u32 v[10:11], null, s22, s4, v[0:1]
	v_cmp_gt_u32_e32 vcc_lo, s4, v0
	s_and_b32 s23, s0, vcc_lo
	s_delay_alu instid0(VALU_DEP_2) | instskip(NEXT) | instid1(VALU_DEP_1)
	v_mad_u64_u32 v[5:6], null, v10, s14, v[3:4]
	v_mad_u64_u32 v[12:13], null, v11, s14, v[6:7]
	s_delay_alu instid0(VALU_DEP_1)
	v_mov_b32_e32 v6, v12
	s_and_saveexec_b32 s24, s23
	s_cbranch_execz .LBB20_5
; %bb.4:                                ;   in Loop: Header=BB20_3 Depth=1
	s_waitcnt vmcnt(0)
	s_delay_alu instid0(VALU_DEP_3) | instskip(NEXT) | instid1(VALU_DEP_1)
	v_add_co_u32 v9, s0, s18, v5
	v_add_co_ci_u32_e64 v10, s0, s19, v6, s0
	global_load_u8 v9, v[9:10], off
.LBB20_5:                               ;   in Loop: Header=BB20_3 Depth=1
	s_or_b32 exec_lo, exec_lo, s24
	v_add_nc_u32_e32 v10, 2, v3
	s_delay_alu instid0(VALU_DEP_1) | instskip(NEXT) | instid1(VALU_DEP_1)
	v_cmp_gt_u32_e64 s0, s5, v10
	s_and_b32 s0, s0, vcc_lo
	s_delay_alu instid0(SALU_CYCLE_1)
	s_and_saveexec_b32 s24, s0
	s_cbranch_execz .LBB20_7
; %bb.6:                                ;   in Loop: Header=BB20_3 Depth=1
	v_add_co_u32 v5, vcc_lo, s12, v5
	v_add_co_ci_u32_e32 v6, vcc_lo, s13, v6, vcc_lo
	global_load_u8 v8, v[5:6], off
.LBB20_7:                               ;   in Loop: Header=BB20_3 Depth=1
	s_or_b32 exec_lo, exec_lo, s24
	v_mad_u64_u32 v[5:6], null, s22, s14, v[3:4]
	s_delay_alu instid0(VALU_DEP_1) | instskip(NEXT) | instid1(VALU_DEP_1)
	v_mad_u64_u32 v[3:4], null, v5, s4, v[0:1]
	v_mov_b32_e32 v0, v4
	s_delay_alu instid0(VALU_DEP_1) | instskip(NEXT) | instid1(VALU_DEP_1)
	v_mad_u64_u32 v[4:5], null, v6, s4, v[0:1]
	v_mov_b32_e32 v0, v4
	s_and_saveexec_b32 s22, s23
	s_cbranch_execz .LBB20_9
; %bb.8:                                ;   in Loop: Header=BB20_3 Depth=1
	s_delay_alu instid0(VALU_DEP_4) | instskip(NEXT) | instid1(VALU_DEP_2)
	v_add_co_u32 v4, vcc_lo, s16, v3
	v_add_co_ci_u32_e32 v5, vcc_lo, s17, v0, vcc_lo
	s_waitcnt vmcnt(0)
	global_store_b8 v[4:5], v9, off
.LBB20_9:                               ;   in Loop: Header=BB20_3 Depth=1
	s_or_b32 exec_lo, exec_lo, s22
	s_and_saveexec_b32 s22, s0
	s_cbranch_execz .LBB20_2
; %bb.10:                               ;   in Loop: Header=BB20_3 Depth=1
	v_add_co_u32 v3, vcc_lo, s2, v3
	v_add_co_ci_u32_e32 v4, vcc_lo, s3, v0, vcc_lo
	s_waitcnt vmcnt(0)
	global_store_b8 v[3:4], v8, off
	s_branch .LBB20_2
.LBB20_11:
	s_nop 0
	s_sendmsg sendmsg(MSG_DEALLOC_VGPRS)
	s_endpgm
	.section	.rodata,"a",@progbits
	.p2align	6, 0x0
	.amdhsa_kernel batched_transpose_4x128_byte
		.amdhsa_group_segment_fixed_size 0
		.amdhsa_private_segment_fixed_size 0
		.amdhsa_kernarg_size 48
		.amdhsa_user_sgpr_count 15
		.amdhsa_user_sgpr_dispatch_ptr 0
		.amdhsa_user_sgpr_queue_ptr 0
		.amdhsa_user_sgpr_kernarg_segment_ptr 1
		.amdhsa_user_sgpr_dispatch_id 0
		.amdhsa_user_sgpr_private_segment_size 0
		.amdhsa_wavefront_size32 1
		.amdhsa_uses_dynamic_stack 0
		.amdhsa_enable_private_segment 0
		.amdhsa_system_sgpr_workgroup_id_x 1
		.amdhsa_system_sgpr_workgroup_id_y 0
		.amdhsa_system_sgpr_workgroup_id_z 0
		.amdhsa_system_sgpr_workgroup_info 0
		.amdhsa_system_vgpr_workitem_id 0
		.amdhsa_next_free_vgpr 14
		.amdhsa_next_free_sgpr 25
		.amdhsa_reserve_vcc 1
		.amdhsa_float_round_mode_32 0
		.amdhsa_float_round_mode_16_64 0
		.amdhsa_float_denorm_mode_32 3
		.amdhsa_float_denorm_mode_16_64 3
		.amdhsa_dx10_clamp 1
		.amdhsa_ieee_mode 1
		.amdhsa_fp16_overflow 0
		.amdhsa_workgroup_processor_mode 1
		.amdhsa_memory_ordered 1
		.amdhsa_forward_progress 0
		.amdhsa_shared_vgpr_count 0
		.amdhsa_exception_fp_ieee_invalid_op 0
		.amdhsa_exception_fp_denorm_src 0
		.amdhsa_exception_fp_ieee_div_zero 0
		.amdhsa_exception_fp_ieee_overflow 0
		.amdhsa_exception_fp_ieee_underflow 0
		.amdhsa_exception_fp_ieee_inexact 0
		.amdhsa_exception_int_div_zero 0
	.end_amdhsa_kernel
	.text
.Lfunc_end20:
	.size	batched_transpose_4x128_byte, .Lfunc_end20-batched_transpose_4x128_byte
                                        ; -- End function
	.section	.AMDGPU.csdata,"",@progbits
; Kernel info:
; codeLenInByte = 484
; NumSgprs: 27
; NumVgprs: 14
; ScratchSize: 0
; MemoryBound: 0
; FloatMode: 240
; IeeeMode: 1
; LDSByteSize: 0 bytes/workgroup (compile time only)
; SGPRBlocks: 3
; VGPRBlocks: 1
; NumSGPRsForWavesPerEU: 27
; NumVGPRsForWavesPerEU: 14
; Occupancy: 16
; WaveLimiterHint : 0
; COMPUTE_PGM_RSRC2:SCRATCH_EN: 0
; COMPUTE_PGM_RSRC2:USER_SGPR: 15
; COMPUTE_PGM_RSRC2:TRAP_HANDLER: 0
; COMPUTE_PGM_RSRC2:TGID_X_EN: 1
; COMPUTE_PGM_RSRC2:TGID_Y_EN: 0
; COMPUTE_PGM_RSRC2:TGID_Z_EN: 0
; COMPUTE_PGM_RSRC2:TIDIG_COMP_CNT: 0
	.text
	.protected	batched_transpose_128x4_dword ; -- Begin function batched_transpose_128x4_dword
	.globl	batched_transpose_128x4_dword
	.p2align	8
	.type	batched_transpose_128x4_dword,@function
batched_transpose_128x4_dword:          ; @batched_transpose_128x4_dword
; %bb.0:
	s_load_b256 s[4:11], s[0:1], 0x10
	s_waitcnt lgkmcnt(0)
	s_cmp_ge_u32 s15, s7
	s_cbranch_scc1 .LBB21_11
; %bb.1:
	s_load_b128 s[16:19], s[0:1], 0x0
	s_mov_b32 s3, 0
	s_lshl_b32 s2, s5, 1
	s_add_i32 s0, s4, 3
	v_dual_mov_b32 v1, 0 :: v_dual_and_b32 v2, 0x7f, v0
	s_lshl_b64 s[2:3], s[2:3], 2
	s_add_i32 s14, s5, 0x7f
	s_lshr_b32 s1, s0, 2
	v_lshrrev_b32_e32 v7, 7, v0
	v_lshl_or_b32 v2, s15, 7, v2
                                        ; implicit-def: $vgpr8
                                        ; implicit-def: $vgpr9
	s_waitcnt lgkmcnt(0)
	s_add_u32 s2, s18, s2
	s_addc_u32 s3, s19, s3
	s_add_u32 s12, s16, 8
	s_addc_u32 s13, s17, 0
	s_and_b32 s0, s14, 0xffffff80
	s_mov_b32 s14, s5
	s_sub_i32 s20, 0, s0
	s_lshl_b32 s21, s6, 7
	s_branch .LBB21_3
.LBB21_2:                               ;   in Loop: Header=BB21_3 Depth=1
	s_or_b32 exec_lo, exec_lo, s22
	v_add_nc_u32_e32 v2, s21, v2
	s_add_i32 s15, s15, s6
	s_delay_alu instid0(SALU_CYCLE_1)
	s_cmp_lt_u32 s15, s7
	s_cbranch_scc0 .LBB21_11
.LBB21_3:                               ; =>This Inner Loop Header: Depth=1
	s_mul_hi_u32 s0, s10, s15
	s_delay_alu instid0(SALU_CYCLE_1) | instskip(NEXT) | instid1(SALU_CYCLE_1)
	s_add_i32 s0, s15, s0
	s_lshr_b32 s0, s0, s11
	s_delay_alu instid0(SALU_CYCLE_1) | instskip(SKIP_4) | instid1(SALU_CYCLE_1)
	s_mul_hi_u32 s22, s0, s8
	v_mad_u64_u32 v[3:4], null, s20, s0, v[2:3]
	s_add_i32 s22, s0, s22
	v_mov_b32_e32 v4, v1
	s_lshr_b32 s22, s22, s9
	s_mul_i32 s23, s22, s1
	s_delay_alu instid0(SALU_CYCLE_1) | instskip(NEXT) | instid1(VALU_DEP_2)
	s_sub_i32 s23, s0, s23
	v_cmp_gt_u32_e32 vcc_lo, s5, v3
	v_lshl_or_b32 v0, s23, 2, v7
	s_delay_alu instid0(VALU_DEP_1) | instskip(SKIP_1) | instid1(VALU_DEP_1)
	v_mad_u64_u32 v[5:6], null, s22, s4, v[0:1]
	v_cmp_gt_u32_e64 s0, s4, v0
	s_and_b32 s23, s0, vcc_lo
	s_delay_alu instid0(VALU_DEP_2) | instskip(NEXT) | instid1(VALU_DEP_1)
	v_mad_u64_u32 v[10:11], null, v5, s14, v[3:4]
	v_mov_b32_e32 v5, v11
	s_delay_alu instid0(VALU_DEP_1) | instskip(NEXT) | instid1(VALU_DEP_1)
	v_mad_u64_u32 v[11:12], null, v6, s14, v[5:6]
	v_lshlrev_b64 v[5:6], 2, v[10:11]
	s_and_saveexec_b32 s24, s23
	s_cbranch_execz .LBB21_5
; %bb.4:                                ;   in Loop: Header=BB21_3 Depth=1
	s_waitcnt vmcnt(0)
	s_delay_alu instid0(VALU_DEP_1) | instskip(NEXT) | instid1(VALU_DEP_1)
	v_add_co_u32 v9, s0, s18, v5
	v_add_co_ci_u32_e64 v10, s0, s19, v6, s0
	global_load_b32 v9, v[9:10], off
.LBB21_5:                               ;   in Loop: Header=BB21_3 Depth=1
	s_or_b32 exec_lo, exec_lo, s24
	v_add_nc_u32_e32 v10, 2, v0
	s_delay_alu instid0(VALU_DEP_1) | instskip(NEXT) | instid1(VALU_DEP_1)
	v_cmp_gt_u32_e64 s0, s4, v10
	s_and_b32 s0, s0, vcc_lo
	s_delay_alu instid0(SALU_CYCLE_1)
	s_and_saveexec_b32 s24, s0
	s_cbranch_execz .LBB21_7
; %bb.6:                                ;   in Loop: Header=BB21_3 Depth=1
	v_add_co_u32 v5, vcc_lo, s2, v5
	v_add_co_ci_u32_e32 v6, vcc_lo, s3, v6, vcc_lo
	global_load_b32 v8, v[5:6], off
.LBB21_7:                               ;   in Loop: Header=BB21_3 Depth=1
	s_or_b32 exec_lo, exec_lo, s24
	v_mad_u64_u32 v[5:6], null, s22, s14, v[3:4]
	s_delay_alu instid0(VALU_DEP_1) | instskip(NEXT) | instid1(VALU_DEP_1)
	v_mad_u64_u32 v[3:4], null, v5, s4, v[0:1]
	v_mov_b32_e32 v0, v4
	s_delay_alu instid0(VALU_DEP_1) | instskip(NEXT) | instid1(VALU_DEP_1)
	v_mad_u64_u32 v[4:5], null, v6, s4, v[0:1]
	v_lshlrev_b64 v[3:4], 2, v[3:4]
	s_and_saveexec_b32 s22, s23
	s_cbranch_execz .LBB21_9
; %bb.8:                                ;   in Loop: Header=BB21_3 Depth=1
	s_delay_alu instid0(VALU_DEP_1) | instskip(NEXT) | instid1(VALU_DEP_2)
	v_add_co_u32 v5, vcc_lo, s16, v3
	v_add_co_ci_u32_e32 v6, vcc_lo, s17, v4, vcc_lo
	s_waitcnt vmcnt(0)
	global_store_b32 v[5:6], v9, off
.LBB21_9:                               ;   in Loop: Header=BB21_3 Depth=1
	s_or_b32 exec_lo, exec_lo, s22
	s_and_saveexec_b32 s22, s0
	s_cbranch_execz .LBB21_2
; %bb.10:                               ;   in Loop: Header=BB21_3 Depth=1
	v_add_co_u32 v3, vcc_lo, s12, v3
	v_add_co_ci_u32_e32 v4, vcc_lo, s13, v4, vcc_lo
	s_waitcnt vmcnt(0)
	global_store_b32 v[3:4], v8, off
	s_branch .LBB21_2
.LBB21_11:
	s_nop 0
	s_sendmsg sendmsg(MSG_DEALLOC_VGPRS)
	s_endpgm
	.section	.rodata,"a",@progbits
	.p2align	6, 0x0
	.amdhsa_kernel batched_transpose_128x4_dword
		.amdhsa_group_segment_fixed_size 0
		.amdhsa_private_segment_fixed_size 0
		.amdhsa_kernarg_size 48
		.amdhsa_user_sgpr_count 15
		.amdhsa_user_sgpr_dispatch_ptr 0
		.amdhsa_user_sgpr_queue_ptr 0
		.amdhsa_user_sgpr_kernarg_segment_ptr 1
		.amdhsa_user_sgpr_dispatch_id 0
		.amdhsa_user_sgpr_private_segment_size 0
		.amdhsa_wavefront_size32 1
		.amdhsa_uses_dynamic_stack 0
		.amdhsa_enable_private_segment 0
		.amdhsa_system_sgpr_workgroup_id_x 1
		.amdhsa_system_sgpr_workgroup_id_y 0
		.amdhsa_system_sgpr_workgroup_id_z 0
		.amdhsa_system_sgpr_workgroup_info 0
		.amdhsa_system_vgpr_workitem_id 0
		.amdhsa_next_free_vgpr 13
		.amdhsa_next_free_sgpr 25
		.amdhsa_reserve_vcc 1
		.amdhsa_float_round_mode_32 0
		.amdhsa_float_round_mode_16_64 0
		.amdhsa_float_denorm_mode_32 3
		.amdhsa_float_denorm_mode_16_64 3
		.amdhsa_dx10_clamp 1
		.amdhsa_ieee_mode 1
		.amdhsa_fp16_overflow 0
		.amdhsa_workgroup_processor_mode 1
		.amdhsa_memory_ordered 1
		.amdhsa_forward_progress 0
		.amdhsa_shared_vgpr_count 0
		.amdhsa_exception_fp_ieee_invalid_op 0
		.amdhsa_exception_fp_denorm_src 0
		.amdhsa_exception_fp_ieee_div_zero 0
		.amdhsa_exception_fp_ieee_overflow 0
		.amdhsa_exception_fp_ieee_underflow 0
		.amdhsa_exception_fp_ieee_inexact 0
		.amdhsa_exception_int_div_zero 0
	.end_amdhsa_kernel
	.text
.Lfunc_end21:
	.size	batched_transpose_128x4_dword, .Lfunc_end21-batched_transpose_128x4_dword
                                        ; -- End function
	.section	.AMDGPU.csdata,"",@progbits
; Kernel info:
; codeLenInByte = 508
; NumSgprs: 27
; NumVgprs: 13
; ScratchSize: 0
; MemoryBound: 0
; FloatMode: 240
; IeeeMode: 1
; LDSByteSize: 0 bytes/workgroup (compile time only)
; SGPRBlocks: 3
; VGPRBlocks: 1
; NumSGPRsForWavesPerEU: 27
; NumVGPRsForWavesPerEU: 13
; Occupancy: 16
; WaveLimiterHint : 0
; COMPUTE_PGM_RSRC2:SCRATCH_EN: 0
; COMPUTE_PGM_RSRC2:USER_SGPR: 15
; COMPUTE_PGM_RSRC2:TRAP_HANDLER: 0
; COMPUTE_PGM_RSRC2:TGID_X_EN: 1
; COMPUTE_PGM_RSRC2:TGID_Y_EN: 0
; COMPUTE_PGM_RSRC2:TGID_Z_EN: 0
; COMPUTE_PGM_RSRC2:TIDIG_COMP_CNT: 0
	.text
	.protected	batched_transpose_128x4_half ; -- Begin function batched_transpose_128x4_half
	.globl	batched_transpose_128x4_half
	.p2align	8
	.type	batched_transpose_128x4_half,@function
batched_transpose_128x4_half:           ; @batched_transpose_128x4_half
; %bb.0:
	s_load_b256 s[4:11], s[0:1], 0x10
	s_waitcnt lgkmcnt(0)
	s_cmp_ge_u32 s15, s7
	s_cbranch_scc1 .LBB22_11
; %bb.1:
	s_load_b128 s[16:19], s[0:1], 0x0
	s_mov_b32 s3, 0
	s_lshl_b32 s2, s5, 1
	s_add_i32 s0, s4, 3
	v_dual_mov_b32 v1, 0 :: v_dual_and_b32 v2, 0x7f, v0
	s_lshl_b64 s[2:3], s[2:3], 1
	s_add_i32 s14, s5, 0x7f
	s_lshr_b32 s1, s0, 2
	v_lshrrev_b32_e32 v7, 7, v0
	v_lshl_or_b32 v2, s15, 7, v2
                                        ; implicit-def: $vgpr8
                                        ; implicit-def: $vgpr9
	s_waitcnt lgkmcnt(0)
	s_add_u32 s2, s18, s2
	s_addc_u32 s3, s19, s3
	s_add_u32 s12, s16, 4
	s_addc_u32 s13, s17, 0
	s_and_b32 s0, s14, 0xffffff80
	s_mov_b32 s14, s5
	s_sub_i32 s20, 0, s0
	s_lshl_b32 s21, s6, 7
	s_branch .LBB22_3
.LBB22_2:                               ;   in Loop: Header=BB22_3 Depth=1
	s_or_b32 exec_lo, exec_lo, s22
	v_add_nc_u32_e32 v2, s21, v2
	s_add_i32 s15, s15, s6
	s_delay_alu instid0(SALU_CYCLE_1)
	s_cmp_lt_u32 s15, s7
	s_cbranch_scc0 .LBB22_11
.LBB22_3:                               ; =>This Inner Loop Header: Depth=1
	s_mul_hi_u32 s0, s10, s15
	s_delay_alu instid0(SALU_CYCLE_1) | instskip(NEXT) | instid1(SALU_CYCLE_1)
	s_add_i32 s0, s15, s0
	s_lshr_b32 s0, s0, s11
	s_delay_alu instid0(SALU_CYCLE_1) | instskip(SKIP_4) | instid1(SALU_CYCLE_1)
	s_mul_hi_u32 s22, s0, s8
	v_mad_u64_u32 v[3:4], null, s20, s0, v[2:3]
	s_add_i32 s22, s0, s22
	v_mov_b32_e32 v4, v1
	s_lshr_b32 s22, s22, s9
	s_mul_i32 s23, s22, s1
	s_delay_alu instid0(SALU_CYCLE_1) | instskip(NEXT) | instid1(VALU_DEP_2)
	s_sub_i32 s23, s0, s23
	v_cmp_gt_u32_e32 vcc_lo, s5, v3
	v_lshl_or_b32 v0, s23, 2, v7
	s_delay_alu instid0(VALU_DEP_1) | instskip(SKIP_1) | instid1(VALU_DEP_1)
	v_mad_u64_u32 v[5:6], null, s22, s4, v[0:1]
	v_cmp_gt_u32_e64 s0, s4, v0
	s_and_b32 s23, s0, vcc_lo
	s_delay_alu instid0(VALU_DEP_2) | instskip(NEXT) | instid1(VALU_DEP_1)
	v_mad_u64_u32 v[10:11], null, v5, s14, v[3:4]
	v_mov_b32_e32 v5, v11
	s_delay_alu instid0(VALU_DEP_1) | instskip(NEXT) | instid1(VALU_DEP_1)
	v_mad_u64_u32 v[11:12], null, v6, s14, v[5:6]
	v_lshlrev_b64 v[5:6], 1, v[10:11]
	s_and_saveexec_b32 s24, s23
	s_cbranch_execz .LBB22_5
; %bb.4:                                ;   in Loop: Header=BB22_3 Depth=1
	s_waitcnt vmcnt(0)
	s_delay_alu instid0(VALU_DEP_1) | instskip(NEXT) | instid1(VALU_DEP_1)
	v_add_co_u32 v9, s0, s18, v5
	v_add_co_ci_u32_e64 v10, s0, s19, v6, s0
	global_load_u16 v9, v[9:10], off
.LBB22_5:                               ;   in Loop: Header=BB22_3 Depth=1
	s_or_b32 exec_lo, exec_lo, s24
	v_add_nc_u32_e32 v10, 2, v0
	s_delay_alu instid0(VALU_DEP_1) | instskip(NEXT) | instid1(VALU_DEP_1)
	v_cmp_gt_u32_e64 s0, s4, v10
	s_and_b32 s0, s0, vcc_lo
	s_delay_alu instid0(SALU_CYCLE_1)
	s_and_saveexec_b32 s24, s0
	s_cbranch_execz .LBB22_7
; %bb.6:                                ;   in Loop: Header=BB22_3 Depth=1
	v_add_co_u32 v5, vcc_lo, s2, v5
	v_add_co_ci_u32_e32 v6, vcc_lo, s3, v6, vcc_lo
	global_load_u16 v8, v[5:6], off
.LBB22_7:                               ;   in Loop: Header=BB22_3 Depth=1
	s_or_b32 exec_lo, exec_lo, s24
	v_mad_u64_u32 v[5:6], null, s22, s14, v[3:4]
	s_delay_alu instid0(VALU_DEP_1) | instskip(NEXT) | instid1(VALU_DEP_1)
	v_mad_u64_u32 v[3:4], null, v5, s4, v[0:1]
	v_mov_b32_e32 v0, v4
	s_delay_alu instid0(VALU_DEP_1) | instskip(NEXT) | instid1(VALU_DEP_1)
	v_mad_u64_u32 v[4:5], null, v6, s4, v[0:1]
	v_lshlrev_b64 v[3:4], 1, v[3:4]
	s_and_saveexec_b32 s22, s23
	s_cbranch_execz .LBB22_9
; %bb.8:                                ;   in Loop: Header=BB22_3 Depth=1
	s_delay_alu instid0(VALU_DEP_1) | instskip(NEXT) | instid1(VALU_DEP_2)
	v_add_co_u32 v5, vcc_lo, s16, v3
	v_add_co_ci_u32_e32 v6, vcc_lo, s17, v4, vcc_lo
	s_waitcnt vmcnt(0)
	global_store_b16 v[5:6], v9, off
.LBB22_9:                               ;   in Loop: Header=BB22_3 Depth=1
	s_or_b32 exec_lo, exec_lo, s22
	s_and_saveexec_b32 s22, s0
	s_cbranch_execz .LBB22_2
; %bb.10:                               ;   in Loop: Header=BB22_3 Depth=1
	v_add_co_u32 v3, vcc_lo, s12, v3
	v_add_co_ci_u32_e32 v4, vcc_lo, s13, v4, vcc_lo
	s_waitcnt vmcnt(0)
	global_store_b16 v[3:4], v8, off
	s_branch .LBB22_2
.LBB22_11:
	s_nop 0
	s_sendmsg sendmsg(MSG_DEALLOC_VGPRS)
	s_endpgm
	.section	.rodata,"a",@progbits
	.p2align	6, 0x0
	.amdhsa_kernel batched_transpose_128x4_half
		.amdhsa_group_segment_fixed_size 0
		.amdhsa_private_segment_fixed_size 0
		.amdhsa_kernarg_size 48
		.amdhsa_user_sgpr_count 15
		.amdhsa_user_sgpr_dispatch_ptr 0
		.amdhsa_user_sgpr_queue_ptr 0
		.amdhsa_user_sgpr_kernarg_segment_ptr 1
		.amdhsa_user_sgpr_dispatch_id 0
		.amdhsa_user_sgpr_private_segment_size 0
		.amdhsa_wavefront_size32 1
		.amdhsa_uses_dynamic_stack 0
		.amdhsa_enable_private_segment 0
		.amdhsa_system_sgpr_workgroup_id_x 1
		.amdhsa_system_sgpr_workgroup_id_y 0
		.amdhsa_system_sgpr_workgroup_id_z 0
		.amdhsa_system_sgpr_workgroup_info 0
		.amdhsa_system_vgpr_workitem_id 0
		.amdhsa_next_free_vgpr 13
		.amdhsa_next_free_sgpr 25
		.amdhsa_reserve_vcc 1
		.amdhsa_float_round_mode_32 0
		.amdhsa_float_round_mode_16_64 0
		.amdhsa_float_denorm_mode_32 3
		.amdhsa_float_denorm_mode_16_64 3
		.amdhsa_dx10_clamp 1
		.amdhsa_ieee_mode 1
		.amdhsa_fp16_overflow 0
		.amdhsa_workgroup_processor_mode 1
		.amdhsa_memory_ordered 1
		.amdhsa_forward_progress 0
		.amdhsa_shared_vgpr_count 0
		.amdhsa_exception_fp_ieee_invalid_op 0
		.amdhsa_exception_fp_denorm_src 0
		.amdhsa_exception_fp_ieee_div_zero 0
		.amdhsa_exception_fp_ieee_overflow 0
		.amdhsa_exception_fp_ieee_underflow 0
		.amdhsa_exception_fp_ieee_inexact 0
		.amdhsa_exception_int_div_zero 0
	.end_amdhsa_kernel
	.text
.Lfunc_end22:
	.size	batched_transpose_128x4_half, .Lfunc_end22-batched_transpose_128x4_half
                                        ; -- End function
	.section	.AMDGPU.csdata,"",@progbits
; Kernel info:
; codeLenInByte = 508
; NumSgprs: 27
; NumVgprs: 13
; ScratchSize: 0
; MemoryBound: 0
; FloatMode: 240
; IeeeMode: 1
; LDSByteSize: 0 bytes/workgroup (compile time only)
; SGPRBlocks: 3
; VGPRBlocks: 1
; NumSGPRsForWavesPerEU: 27
; NumVGPRsForWavesPerEU: 13
; Occupancy: 16
; WaveLimiterHint : 0
; COMPUTE_PGM_RSRC2:SCRATCH_EN: 0
; COMPUTE_PGM_RSRC2:USER_SGPR: 15
; COMPUTE_PGM_RSRC2:TRAP_HANDLER: 0
; COMPUTE_PGM_RSRC2:TGID_X_EN: 1
; COMPUTE_PGM_RSRC2:TGID_Y_EN: 0
; COMPUTE_PGM_RSRC2:TGID_Z_EN: 0
; COMPUTE_PGM_RSRC2:TIDIG_COMP_CNT: 0
	.text
	.protected	batched_transpose_128x4_byte ; -- Begin function batched_transpose_128x4_byte
	.globl	batched_transpose_128x4_byte
	.p2align	8
	.type	batched_transpose_128x4_byte,@function
batched_transpose_128x4_byte:           ; @batched_transpose_128x4_byte
; %bb.0:
	s_load_b256 s[4:11], s[0:1], 0x10
	s_waitcnt lgkmcnt(0)
	s_cmp_ge_u32 s15, s7
	s_cbranch_scc1 .LBB23_11
; %bb.1:
	s_load_b128 s[16:19], s[0:1], 0x0
	s_add_i32 s0, s4, 3
	v_dual_mov_b32 v1, 0 :: v_dual_and_b32 v2, 0x7f, v0
	s_lshl_b32 s2, s5, 1
	s_add_i32 s14, s5, 0x7f
	s_lshr_b32 s1, s0, 2
	v_lshrrev_b32_e32 v7, 7, v0
	v_lshl_or_b32 v2, s15, 7, v2
                                        ; implicit-def: $vgpr8
                                        ; implicit-def: $vgpr9
	s_waitcnt lgkmcnt(0)
	s_add_u32 s2, s18, s2
	s_addc_u32 s3, s19, 0
	s_add_u32 s12, s16, 2
	s_addc_u32 s13, s17, 0
	s_and_b32 s0, s14, 0xffffff80
	s_mov_b32 s14, s5
	s_sub_i32 s20, 0, s0
	s_lshl_b32 s21, s6, 7
	s_branch .LBB23_3
.LBB23_2:                               ;   in Loop: Header=BB23_3 Depth=1
	s_or_b32 exec_lo, exec_lo, s22
	v_add_nc_u32_e32 v2, s21, v2
	s_add_i32 s15, s15, s6
	s_delay_alu instid0(SALU_CYCLE_1)
	s_cmp_lt_u32 s15, s7
	s_cbranch_scc0 .LBB23_11
.LBB23_3:                               ; =>This Inner Loop Header: Depth=1
	s_mul_hi_u32 s0, s10, s15
	s_delay_alu instid0(SALU_CYCLE_1) | instskip(NEXT) | instid1(SALU_CYCLE_1)
	s_add_i32 s0, s15, s0
	s_lshr_b32 s0, s0, s11
	s_delay_alu instid0(SALU_CYCLE_1) | instskip(SKIP_4) | instid1(SALU_CYCLE_1)
	s_mul_hi_u32 s22, s0, s8
	v_mad_u64_u32 v[3:4], null, s20, s0, v[2:3]
	s_add_i32 s22, s0, s22
	v_mov_b32_e32 v4, v1
	s_lshr_b32 s22, s22, s9
	s_mul_i32 s23, s22, s1
	s_delay_alu instid0(SALU_CYCLE_1) | instskip(NEXT) | instid1(VALU_DEP_2)
	s_sub_i32 s23, s0, s23
	v_cmp_gt_u32_e32 vcc_lo, s5, v3
	v_lshl_or_b32 v0, s23, 2, v7
	s_delay_alu instid0(VALU_DEP_1) | instskip(SKIP_1) | instid1(VALU_DEP_1)
	v_mad_u64_u32 v[10:11], null, s22, s4, v[0:1]
	v_cmp_gt_u32_e64 s0, s4, v0
	s_and_b32 s23, s0, vcc_lo
	s_delay_alu instid0(VALU_DEP_2) | instskip(NEXT) | instid1(VALU_DEP_1)
	v_mad_u64_u32 v[5:6], null, v10, s14, v[3:4]
	v_mad_u64_u32 v[12:13], null, v11, s14, v[6:7]
	s_delay_alu instid0(VALU_DEP_1)
	v_mov_b32_e32 v6, v12
	s_and_saveexec_b32 s24, s23
	s_cbranch_execz .LBB23_5
; %bb.4:                                ;   in Loop: Header=BB23_3 Depth=1
	s_waitcnt vmcnt(0)
	s_delay_alu instid0(VALU_DEP_3) | instskip(NEXT) | instid1(VALU_DEP_1)
	v_add_co_u32 v9, s0, s18, v5
	v_add_co_ci_u32_e64 v10, s0, s19, v6, s0
	global_load_u8 v9, v[9:10], off
.LBB23_5:                               ;   in Loop: Header=BB23_3 Depth=1
	s_or_b32 exec_lo, exec_lo, s24
	v_add_nc_u32_e32 v10, 2, v0
	s_delay_alu instid0(VALU_DEP_1) | instskip(NEXT) | instid1(VALU_DEP_1)
	v_cmp_gt_u32_e64 s0, s4, v10
	s_and_b32 s0, s0, vcc_lo
	s_delay_alu instid0(SALU_CYCLE_1)
	s_and_saveexec_b32 s24, s0
	s_cbranch_execz .LBB23_7
; %bb.6:                                ;   in Loop: Header=BB23_3 Depth=1
	v_add_co_u32 v5, vcc_lo, s2, v5
	v_add_co_ci_u32_e32 v6, vcc_lo, s3, v6, vcc_lo
	global_load_u8 v8, v[5:6], off
.LBB23_7:                               ;   in Loop: Header=BB23_3 Depth=1
	s_or_b32 exec_lo, exec_lo, s24
	v_mad_u64_u32 v[5:6], null, s22, s14, v[3:4]
	s_delay_alu instid0(VALU_DEP_1) | instskip(NEXT) | instid1(VALU_DEP_1)
	v_mad_u64_u32 v[3:4], null, v5, s4, v[0:1]
	v_mov_b32_e32 v0, v4
	s_delay_alu instid0(VALU_DEP_1) | instskip(NEXT) | instid1(VALU_DEP_1)
	v_mad_u64_u32 v[4:5], null, v6, s4, v[0:1]
	v_mov_b32_e32 v0, v4
	s_and_saveexec_b32 s22, s23
	s_cbranch_execz .LBB23_9
; %bb.8:                                ;   in Loop: Header=BB23_3 Depth=1
	s_delay_alu instid0(VALU_DEP_4) | instskip(NEXT) | instid1(VALU_DEP_2)
	v_add_co_u32 v4, vcc_lo, s16, v3
	v_add_co_ci_u32_e32 v5, vcc_lo, s17, v0, vcc_lo
	s_waitcnt vmcnt(0)
	global_store_b8 v[4:5], v9, off
.LBB23_9:                               ;   in Loop: Header=BB23_3 Depth=1
	s_or_b32 exec_lo, exec_lo, s22
	s_and_saveexec_b32 s22, s0
	s_cbranch_execz .LBB23_2
; %bb.10:                               ;   in Loop: Header=BB23_3 Depth=1
	v_add_co_u32 v3, vcc_lo, s12, v3
	v_add_co_ci_u32_e32 v4, vcc_lo, s13, v0, vcc_lo
	s_waitcnt vmcnt(0)
	global_store_b8 v[3:4], v8, off
	s_branch .LBB23_2
.LBB23_11:
	s_nop 0
	s_sendmsg sendmsg(MSG_DEALLOC_VGPRS)
	s_endpgm
	.section	.rodata,"a",@progbits
	.p2align	6, 0x0
	.amdhsa_kernel batched_transpose_128x4_byte
		.amdhsa_group_segment_fixed_size 0
		.amdhsa_private_segment_fixed_size 0
		.amdhsa_kernarg_size 48
		.amdhsa_user_sgpr_count 15
		.amdhsa_user_sgpr_dispatch_ptr 0
		.amdhsa_user_sgpr_queue_ptr 0
		.amdhsa_user_sgpr_kernarg_segment_ptr 1
		.amdhsa_user_sgpr_dispatch_id 0
		.amdhsa_user_sgpr_private_segment_size 0
		.amdhsa_wavefront_size32 1
		.amdhsa_uses_dynamic_stack 0
		.amdhsa_enable_private_segment 0
		.amdhsa_system_sgpr_workgroup_id_x 1
		.amdhsa_system_sgpr_workgroup_id_y 0
		.amdhsa_system_sgpr_workgroup_id_z 0
		.amdhsa_system_sgpr_workgroup_info 0
		.amdhsa_system_vgpr_workitem_id 0
		.amdhsa_next_free_vgpr 14
		.amdhsa_next_free_sgpr 25
		.amdhsa_reserve_vcc 1
		.amdhsa_float_round_mode_32 0
		.amdhsa_float_round_mode_16_64 0
		.amdhsa_float_denorm_mode_32 3
		.amdhsa_float_denorm_mode_16_64 3
		.amdhsa_dx10_clamp 1
		.amdhsa_ieee_mode 1
		.amdhsa_fp16_overflow 0
		.amdhsa_workgroup_processor_mode 1
		.amdhsa_memory_ordered 1
		.amdhsa_forward_progress 0
		.amdhsa_shared_vgpr_count 0
		.amdhsa_exception_fp_ieee_invalid_op 0
		.amdhsa_exception_fp_denorm_src 0
		.amdhsa_exception_fp_ieee_div_zero 0
		.amdhsa_exception_fp_ieee_overflow 0
		.amdhsa_exception_fp_ieee_underflow 0
		.amdhsa_exception_fp_ieee_inexact 0
		.amdhsa_exception_int_div_zero 0
	.end_amdhsa_kernel
	.text
.Lfunc_end23:
	.size	batched_transpose_128x4_byte, .Lfunc_end23-batched_transpose_128x4_byte
                                        ; -- End function
	.section	.AMDGPU.csdata,"",@progbits
; Kernel info:
; codeLenInByte = 488
; NumSgprs: 27
; NumVgprs: 14
; ScratchSize: 0
; MemoryBound: 0
; FloatMode: 240
; IeeeMode: 1
; LDSByteSize: 0 bytes/workgroup (compile time only)
; SGPRBlocks: 3
; VGPRBlocks: 1
; NumSGPRsForWavesPerEU: 27
; NumVGPRsForWavesPerEU: 14
; Occupancy: 16
; WaveLimiterHint : 0
; COMPUTE_PGM_RSRC2:SCRATCH_EN: 0
; COMPUTE_PGM_RSRC2:USER_SGPR: 15
; COMPUTE_PGM_RSRC2:TRAP_HANDLER: 0
; COMPUTE_PGM_RSRC2:TGID_X_EN: 1
; COMPUTE_PGM_RSRC2:TGID_Y_EN: 0
; COMPUTE_PGM_RSRC2:TGID_Z_EN: 0
; COMPUTE_PGM_RSRC2:TIDIG_COMP_CNT: 0
	.text
	.protected	batched_transpose_4x64_dword ; -- Begin function batched_transpose_4x64_dword
	.globl	batched_transpose_4x64_dword
	.p2align	8
	.type	batched_transpose_4x64_dword,@function
batched_transpose_4x64_dword:           ; @batched_transpose_4x64_dword
; %bb.0:
	s_load_b256 s[4:11], s[0:1], 0x10
	s_waitcnt lgkmcnt(0)
	s_cmp_ge_u32 s15, s7
	s_cbranch_scc1 .LBB24_7
; %bb.1:
	s_load_b128 s[16:19], s[0:1], 0x0
	v_lshrrev_b32_e32 v1, 6, v0
	s_add_i32 s0, s4, 63
	v_dual_mov_b32 v2, 0 :: v_dual_and_b32 v5, 63, v0
	s_lshr_b32 s1, s0, 6
	s_add_i32 s0, s5, 3
	v_lshl_or_b32 v0, s15, 2, v1
	s_and_b32 s0, s0, -4
	s_mov_b32 s2, s5
	s_sub_i32 s3, 0, s0
	s_lshl_b32 s12, s6, 2
                                        ; implicit-def: $vgpr6
	s_branch .LBB24_3
.LBB24_2:                               ;   in Loop: Header=BB24_3 Depth=1
	s_or_b32 exec_lo, exec_lo, s14
	v_add_nc_u32_e32 v0, s12, v0
	s_add_i32 s15, s15, s6
	s_delay_alu instid0(SALU_CYCLE_1)
	s_cmp_lt_u32 s15, s7
	s_cbranch_scc0 .LBB24_7
.LBB24_3:                               ; =>This Inner Loop Header: Depth=1
	s_mul_hi_u32 s0, s10, s15
	s_delay_alu instid0(SALU_CYCLE_1) | instskip(NEXT) | instid1(SALU_CYCLE_1)
	s_add_i32 s0, s15, s0
	s_lshr_b32 s0, s0, s11
	s_delay_alu instid0(SALU_CYCLE_1) | instskip(SKIP_4) | instid1(SALU_CYCLE_1)
	s_mul_hi_u32 s13, s0, s8
	v_mad_u64_u32 v[3:4], null, s3, s0, v[0:1]
	s_add_i32 s13, s0, s13
	v_mov_b32_e32 v4, v2
	s_lshr_b32 s13, s13, s9
	s_mul_i32 s14, s13, s1
	s_delay_alu instid0(SALU_CYCLE_1) | instskip(NEXT) | instid1(SALU_CYCLE_1)
	s_sub_i32 s0, s0, s14
	v_lshl_or_b32 v1, s0, 6, v5
	s_delay_alu instid0(VALU_DEP_3) | instskip(NEXT) | instid1(VALU_DEP_2)
	v_cmp_gt_u32_e64 s0, s5, v3
	v_cmp_gt_u32_e32 vcc_lo, s4, v1
	s_delay_alu instid0(VALU_DEP_2) | instskip(NEXT) | instid1(SALU_CYCLE_1)
	s_and_b32 s0, s0, vcc_lo
	s_and_saveexec_b32 s14, s0
	s_cbranch_execz .LBB24_5
; %bb.4:                                ;   in Loop: Header=BB24_3 Depth=1
	s_waitcnt vmcnt(0)
	v_mad_u64_u32 v[6:7], null, s13, s4, v[1:2]
	s_delay_alu instid0(VALU_DEP_1) | instskip(NEXT) | instid1(VALU_DEP_1)
	v_mad_u64_u32 v[8:9], null, v6, s2, 0
	v_mov_b32_e32 v6, v9
	s_delay_alu instid0(VALU_DEP_1) | instskip(NEXT) | instid1(VALU_DEP_1)
	v_mad_u64_u32 v[9:10], null, v7, s2, v[6:7]
	v_lshlrev_b64 v[6:7], 2, v[8:9]
	v_lshlrev_b64 v[8:9], 2, v[3:4]
	s_waitcnt lgkmcnt(0)
	s_delay_alu instid0(VALU_DEP_2) | instskip(NEXT) | instid1(VALU_DEP_3)
	v_add_co_u32 v6, vcc_lo, s18, v6
	v_add_co_ci_u32_e32 v7, vcc_lo, s19, v7, vcc_lo
	s_delay_alu instid0(VALU_DEP_2) | instskip(NEXT) | instid1(VALU_DEP_2)
	v_add_co_u32 v6, vcc_lo, v6, v8
	v_add_co_ci_u32_e32 v7, vcc_lo, v7, v9, vcc_lo
	global_load_b32 v6, v[6:7], off
.LBB24_5:                               ;   in Loop: Header=BB24_3 Depth=1
	s_or_b32 exec_lo, exec_lo, s14
	s_and_saveexec_b32 s14, s0
	s_cbranch_execz .LBB24_2
; %bb.6:                                ;   in Loop: Header=BB24_3 Depth=1
	v_mad_u64_u32 v[7:8], null, s13, s2, v[3:4]
	s_delay_alu instid0(VALU_DEP_1) | instskip(NEXT) | instid1(VALU_DEP_1)
	v_mad_u64_u32 v[3:4], null, v7, s4, 0
	v_mad_u64_u32 v[9:10], null, v8, s4, v[4:5]
	v_lshlrev_b64 v[7:8], 2, v[1:2]
	s_delay_alu instid0(VALU_DEP_2) | instskip(NEXT) | instid1(VALU_DEP_1)
	v_mov_b32_e32 v4, v9
	v_lshlrev_b64 v[3:4], 2, v[3:4]
	s_waitcnt lgkmcnt(0)
	s_delay_alu instid0(VALU_DEP_1) | instskip(NEXT) | instid1(VALU_DEP_2)
	v_add_co_u32 v1, vcc_lo, s16, v3
	v_add_co_ci_u32_e32 v4, vcc_lo, s17, v4, vcc_lo
	s_delay_alu instid0(VALU_DEP_2) | instskip(NEXT) | instid1(VALU_DEP_2)
	v_add_co_u32 v3, vcc_lo, v1, v7
	v_add_co_ci_u32_e32 v4, vcc_lo, v4, v8, vcc_lo
	s_waitcnt vmcnt(0)
	global_store_b32 v[3:4], v6, off
	s_branch .LBB24_2
.LBB24_7:
	s_nop 0
	s_sendmsg sendmsg(MSG_DEALLOC_VGPRS)
	s_endpgm
	.section	.rodata,"a",@progbits
	.p2align	6, 0x0
	.amdhsa_kernel batched_transpose_4x64_dword
		.amdhsa_group_segment_fixed_size 0
		.amdhsa_private_segment_fixed_size 0
		.amdhsa_kernarg_size 48
		.amdhsa_user_sgpr_count 15
		.amdhsa_user_sgpr_dispatch_ptr 0
		.amdhsa_user_sgpr_queue_ptr 0
		.amdhsa_user_sgpr_kernarg_segment_ptr 1
		.amdhsa_user_sgpr_dispatch_id 0
		.amdhsa_user_sgpr_private_segment_size 0
		.amdhsa_wavefront_size32 1
		.amdhsa_uses_dynamic_stack 0
		.amdhsa_enable_private_segment 0
		.amdhsa_system_sgpr_workgroup_id_x 1
		.amdhsa_system_sgpr_workgroup_id_y 0
		.amdhsa_system_sgpr_workgroup_id_z 0
		.amdhsa_system_sgpr_workgroup_info 0
		.amdhsa_system_vgpr_workitem_id 0
		.amdhsa_next_free_vgpr 11
		.amdhsa_next_free_sgpr 20
		.amdhsa_reserve_vcc 1
		.amdhsa_float_round_mode_32 0
		.amdhsa_float_round_mode_16_64 0
		.amdhsa_float_denorm_mode_32 3
		.amdhsa_float_denorm_mode_16_64 3
		.amdhsa_dx10_clamp 1
		.amdhsa_ieee_mode 1
		.amdhsa_fp16_overflow 0
		.amdhsa_workgroup_processor_mode 1
		.amdhsa_memory_ordered 1
		.amdhsa_forward_progress 0
		.amdhsa_shared_vgpr_count 0
		.amdhsa_exception_fp_ieee_invalid_op 0
		.amdhsa_exception_fp_denorm_src 0
		.amdhsa_exception_fp_ieee_div_zero 0
		.amdhsa_exception_fp_ieee_overflow 0
		.amdhsa_exception_fp_ieee_underflow 0
		.amdhsa_exception_fp_ieee_inexact 0
		.amdhsa_exception_int_div_zero 0
	.end_amdhsa_kernel
	.text
.Lfunc_end24:
	.size	batched_transpose_4x64_dword, .Lfunc_end24-batched_transpose_4x64_dword
                                        ; -- End function
	.section	.AMDGPU.csdata,"",@progbits
; Kernel info:
; codeLenInByte = 428
; NumSgprs: 22
; NumVgprs: 11
; ScratchSize: 0
; MemoryBound: 0
; FloatMode: 240
; IeeeMode: 1
; LDSByteSize: 0 bytes/workgroup (compile time only)
; SGPRBlocks: 2
; VGPRBlocks: 1
; NumSGPRsForWavesPerEU: 22
; NumVGPRsForWavesPerEU: 11
; Occupancy: 16
; WaveLimiterHint : 0
; COMPUTE_PGM_RSRC2:SCRATCH_EN: 0
; COMPUTE_PGM_RSRC2:USER_SGPR: 15
; COMPUTE_PGM_RSRC2:TRAP_HANDLER: 0
; COMPUTE_PGM_RSRC2:TGID_X_EN: 1
; COMPUTE_PGM_RSRC2:TGID_Y_EN: 0
; COMPUTE_PGM_RSRC2:TGID_Z_EN: 0
; COMPUTE_PGM_RSRC2:TIDIG_COMP_CNT: 0
	.text
	.protected	batched_transpose_4x64_half ; -- Begin function batched_transpose_4x64_half
	.globl	batched_transpose_4x64_half
	.p2align	8
	.type	batched_transpose_4x64_half,@function
batched_transpose_4x64_half:            ; @batched_transpose_4x64_half
; %bb.0:
	s_load_b256 s[4:11], s[0:1], 0x10
	s_waitcnt lgkmcnt(0)
	s_cmp_ge_u32 s15, s7
	s_cbranch_scc1 .LBB25_7
; %bb.1:
	s_load_b128 s[16:19], s[0:1], 0x0
	v_lshrrev_b32_e32 v1, 6, v0
	s_add_i32 s0, s4, 63
	v_dual_mov_b32 v2, 0 :: v_dual_and_b32 v5, 63, v0
	s_lshr_b32 s1, s0, 6
	s_add_i32 s0, s5, 3
	v_lshl_or_b32 v0, s15, 2, v1
	s_and_b32 s0, s0, -4
	s_mov_b32 s2, s5
	s_sub_i32 s3, 0, s0
	s_lshl_b32 s12, s6, 2
                                        ; implicit-def: $vgpr6
	s_branch .LBB25_3
.LBB25_2:                               ;   in Loop: Header=BB25_3 Depth=1
	s_or_b32 exec_lo, exec_lo, s14
	v_add_nc_u32_e32 v0, s12, v0
	s_add_i32 s15, s15, s6
	s_delay_alu instid0(SALU_CYCLE_1)
	s_cmp_lt_u32 s15, s7
	s_cbranch_scc0 .LBB25_7
.LBB25_3:                               ; =>This Inner Loop Header: Depth=1
	s_mul_hi_u32 s0, s10, s15
	s_delay_alu instid0(SALU_CYCLE_1) | instskip(NEXT) | instid1(SALU_CYCLE_1)
	s_add_i32 s0, s15, s0
	s_lshr_b32 s0, s0, s11
	s_delay_alu instid0(SALU_CYCLE_1) | instskip(SKIP_4) | instid1(SALU_CYCLE_1)
	s_mul_hi_u32 s13, s0, s8
	v_mad_u64_u32 v[3:4], null, s3, s0, v[0:1]
	s_add_i32 s13, s0, s13
	v_mov_b32_e32 v4, v2
	s_lshr_b32 s13, s13, s9
	s_mul_i32 s14, s13, s1
	s_delay_alu instid0(SALU_CYCLE_1) | instskip(NEXT) | instid1(SALU_CYCLE_1)
	s_sub_i32 s0, s0, s14
	v_lshl_or_b32 v1, s0, 6, v5
	s_delay_alu instid0(VALU_DEP_3) | instskip(NEXT) | instid1(VALU_DEP_2)
	v_cmp_gt_u32_e64 s0, s5, v3
	v_cmp_gt_u32_e32 vcc_lo, s4, v1
	s_delay_alu instid0(VALU_DEP_2) | instskip(NEXT) | instid1(SALU_CYCLE_1)
	s_and_b32 s0, s0, vcc_lo
	s_and_saveexec_b32 s14, s0
	s_cbranch_execz .LBB25_5
; %bb.4:                                ;   in Loop: Header=BB25_3 Depth=1
	s_waitcnt vmcnt(0)
	v_mad_u64_u32 v[6:7], null, s13, s4, v[1:2]
	s_delay_alu instid0(VALU_DEP_1) | instskip(NEXT) | instid1(VALU_DEP_1)
	v_mad_u64_u32 v[8:9], null, v6, s2, 0
	v_mov_b32_e32 v6, v9
	s_delay_alu instid0(VALU_DEP_1) | instskip(NEXT) | instid1(VALU_DEP_1)
	v_mad_u64_u32 v[9:10], null, v7, s2, v[6:7]
	v_lshlrev_b64 v[6:7], 1, v[8:9]
	v_lshlrev_b64 v[8:9], 1, v[3:4]
	s_waitcnt lgkmcnt(0)
	s_delay_alu instid0(VALU_DEP_2) | instskip(NEXT) | instid1(VALU_DEP_3)
	v_add_co_u32 v6, vcc_lo, s18, v6
	v_add_co_ci_u32_e32 v7, vcc_lo, s19, v7, vcc_lo
	s_delay_alu instid0(VALU_DEP_2) | instskip(NEXT) | instid1(VALU_DEP_2)
	v_add_co_u32 v6, vcc_lo, v6, v8
	v_add_co_ci_u32_e32 v7, vcc_lo, v7, v9, vcc_lo
	global_load_u16 v6, v[6:7], off
.LBB25_5:                               ;   in Loop: Header=BB25_3 Depth=1
	s_or_b32 exec_lo, exec_lo, s14
	s_and_saveexec_b32 s14, s0
	s_cbranch_execz .LBB25_2
; %bb.6:                                ;   in Loop: Header=BB25_3 Depth=1
	v_mad_u64_u32 v[7:8], null, s13, s2, v[3:4]
	s_delay_alu instid0(VALU_DEP_1) | instskip(NEXT) | instid1(VALU_DEP_1)
	v_mad_u64_u32 v[3:4], null, v7, s4, 0
	v_mad_u64_u32 v[9:10], null, v8, s4, v[4:5]
	v_lshlrev_b64 v[7:8], 1, v[1:2]
	s_delay_alu instid0(VALU_DEP_2) | instskip(NEXT) | instid1(VALU_DEP_1)
	v_mov_b32_e32 v4, v9
	v_lshlrev_b64 v[3:4], 1, v[3:4]
	s_waitcnt lgkmcnt(0)
	s_delay_alu instid0(VALU_DEP_1) | instskip(NEXT) | instid1(VALU_DEP_2)
	v_add_co_u32 v1, vcc_lo, s16, v3
	v_add_co_ci_u32_e32 v4, vcc_lo, s17, v4, vcc_lo
	s_delay_alu instid0(VALU_DEP_2) | instskip(NEXT) | instid1(VALU_DEP_2)
	v_add_co_u32 v3, vcc_lo, v1, v7
	v_add_co_ci_u32_e32 v4, vcc_lo, v4, v8, vcc_lo
	s_waitcnt vmcnt(0)
	global_store_b16 v[3:4], v6, off
	s_branch .LBB25_2
.LBB25_7:
	s_nop 0
	s_sendmsg sendmsg(MSG_DEALLOC_VGPRS)
	s_endpgm
	.section	.rodata,"a",@progbits
	.p2align	6, 0x0
	.amdhsa_kernel batched_transpose_4x64_half
		.amdhsa_group_segment_fixed_size 0
		.amdhsa_private_segment_fixed_size 0
		.amdhsa_kernarg_size 48
		.amdhsa_user_sgpr_count 15
		.amdhsa_user_sgpr_dispatch_ptr 0
		.amdhsa_user_sgpr_queue_ptr 0
		.amdhsa_user_sgpr_kernarg_segment_ptr 1
		.amdhsa_user_sgpr_dispatch_id 0
		.amdhsa_user_sgpr_private_segment_size 0
		.amdhsa_wavefront_size32 1
		.amdhsa_uses_dynamic_stack 0
		.amdhsa_enable_private_segment 0
		.amdhsa_system_sgpr_workgroup_id_x 1
		.amdhsa_system_sgpr_workgroup_id_y 0
		.amdhsa_system_sgpr_workgroup_id_z 0
		.amdhsa_system_sgpr_workgroup_info 0
		.amdhsa_system_vgpr_workitem_id 0
		.amdhsa_next_free_vgpr 11
		.amdhsa_next_free_sgpr 20
		.amdhsa_reserve_vcc 1
		.amdhsa_float_round_mode_32 0
		.amdhsa_float_round_mode_16_64 0
		.amdhsa_float_denorm_mode_32 3
		.amdhsa_float_denorm_mode_16_64 3
		.amdhsa_dx10_clamp 1
		.amdhsa_ieee_mode 1
		.amdhsa_fp16_overflow 0
		.amdhsa_workgroup_processor_mode 1
		.amdhsa_memory_ordered 1
		.amdhsa_forward_progress 0
		.amdhsa_shared_vgpr_count 0
		.amdhsa_exception_fp_ieee_invalid_op 0
		.amdhsa_exception_fp_denorm_src 0
		.amdhsa_exception_fp_ieee_div_zero 0
		.amdhsa_exception_fp_ieee_overflow 0
		.amdhsa_exception_fp_ieee_underflow 0
		.amdhsa_exception_fp_ieee_inexact 0
		.amdhsa_exception_int_div_zero 0
	.end_amdhsa_kernel
	.text
.Lfunc_end25:
	.size	batched_transpose_4x64_half, .Lfunc_end25-batched_transpose_4x64_half
                                        ; -- End function
	.section	.AMDGPU.csdata,"",@progbits
; Kernel info:
; codeLenInByte = 428
; NumSgprs: 22
; NumVgprs: 11
; ScratchSize: 0
; MemoryBound: 0
; FloatMode: 240
; IeeeMode: 1
; LDSByteSize: 0 bytes/workgroup (compile time only)
; SGPRBlocks: 2
; VGPRBlocks: 1
; NumSGPRsForWavesPerEU: 22
; NumVGPRsForWavesPerEU: 11
; Occupancy: 16
; WaveLimiterHint : 0
; COMPUTE_PGM_RSRC2:SCRATCH_EN: 0
; COMPUTE_PGM_RSRC2:USER_SGPR: 15
; COMPUTE_PGM_RSRC2:TRAP_HANDLER: 0
; COMPUTE_PGM_RSRC2:TGID_X_EN: 1
; COMPUTE_PGM_RSRC2:TGID_Y_EN: 0
; COMPUTE_PGM_RSRC2:TGID_Z_EN: 0
; COMPUTE_PGM_RSRC2:TIDIG_COMP_CNT: 0
	.text
	.protected	batched_transpose_4x64_byte ; -- Begin function batched_transpose_4x64_byte
	.globl	batched_transpose_4x64_byte
	.p2align	8
	.type	batched_transpose_4x64_byte,@function
batched_transpose_4x64_byte:            ; @batched_transpose_4x64_byte
; %bb.0:
	s_load_b256 s[4:11], s[0:1], 0x10
	s_waitcnt lgkmcnt(0)
	s_cmp_ge_u32 s15, s7
	s_cbranch_scc1 .LBB26_7
; %bb.1:
	s_load_b128 s[16:19], s[0:1], 0x0
	v_lshrrev_b32_e32 v1, 6, v0
	s_add_i32 s0, s4, 63
	v_dual_mov_b32 v2, 0 :: v_dual_and_b32 v5, 63, v0
	s_lshr_b32 s1, s0, 6
	s_add_i32 s0, s5, 3
	v_lshl_or_b32 v0, s15, 2, v1
	s_and_b32 s0, s0, -4
	s_mov_b32 s2, s5
	s_sub_i32 s3, 0, s0
	s_lshl_b32 s12, s6, 2
                                        ; implicit-def: $vgpr6
	s_branch .LBB26_3
.LBB26_2:                               ;   in Loop: Header=BB26_3 Depth=1
	s_or_b32 exec_lo, exec_lo, s14
	v_add_nc_u32_e32 v0, s12, v0
	s_add_i32 s15, s15, s6
	s_delay_alu instid0(SALU_CYCLE_1)
	s_cmp_lt_u32 s15, s7
	s_cbranch_scc0 .LBB26_7
.LBB26_3:                               ; =>This Inner Loop Header: Depth=1
	s_mul_hi_u32 s0, s10, s15
	s_delay_alu instid0(SALU_CYCLE_1) | instskip(NEXT) | instid1(SALU_CYCLE_1)
	s_add_i32 s0, s15, s0
	s_lshr_b32 s0, s0, s11
	s_delay_alu instid0(SALU_CYCLE_1) | instskip(SKIP_4) | instid1(SALU_CYCLE_1)
	s_mul_hi_u32 s13, s0, s8
	v_mad_u64_u32 v[3:4], null, s3, s0, v[0:1]
	s_add_i32 s13, s0, s13
	v_mov_b32_e32 v4, v2
	s_lshr_b32 s13, s13, s9
	s_mul_i32 s14, s13, s1
	s_delay_alu instid0(SALU_CYCLE_1) | instskip(NEXT) | instid1(SALU_CYCLE_1)
	s_sub_i32 s0, s0, s14
	v_lshl_or_b32 v1, s0, 6, v5
	s_delay_alu instid0(VALU_DEP_3) | instskip(NEXT) | instid1(VALU_DEP_2)
	v_cmp_gt_u32_e64 s0, s5, v3
	v_cmp_gt_u32_e32 vcc_lo, s4, v1
	s_delay_alu instid0(VALU_DEP_2) | instskip(NEXT) | instid1(SALU_CYCLE_1)
	s_and_b32 s0, s0, vcc_lo
	s_and_saveexec_b32 s14, s0
	s_cbranch_execz .LBB26_5
; %bb.4:                                ;   in Loop: Header=BB26_3 Depth=1
	s_waitcnt vmcnt(0)
	v_mad_u64_u32 v[6:7], null, s13, s4, v[1:2]
	s_waitcnt lgkmcnt(0)
	s_delay_alu instid0(VALU_DEP_1) | instskip(NEXT) | instid1(VALU_DEP_1)
	v_mad_u64_u32 v[8:9], null, v6, s2, s[18:19]
	v_mov_b32_e32 v6, v9
	s_delay_alu instid0(VALU_DEP_1) | instskip(NEXT) | instid1(VALU_DEP_3)
	v_mad_u64_u32 v[9:10], null, v7, s2, v[6:7]
	v_add_co_u32 v6, vcc_lo, v8, v3
	s_delay_alu instid0(VALU_DEP_2) | instskip(NEXT) | instid1(VALU_DEP_1)
	v_mov_b32_e32 v7, v9
	v_add_co_ci_u32_e32 v7, vcc_lo, 0, v7, vcc_lo
	global_load_u8 v6, v[6:7], off
.LBB26_5:                               ;   in Loop: Header=BB26_3 Depth=1
	s_or_b32 exec_lo, exec_lo, s14
	s_and_saveexec_b32 s14, s0
	s_cbranch_execz .LBB26_2
; %bb.6:                                ;   in Loop: Header=BB26_3 Depth=1
	v_mad_u64_u32 v[7:8], null, s13, s2, v[3:4]
	s_waitcnt lgkmcnt(0)
	s_delay_alu instid0(VALU_DEP_1) | instskip(NEXT) | instid1(VALU_DEP_1)
	v_mad_u64_u32 v[3:4], null, v7, s4, s[16:17]
	v_mad_u64_u32 v[9:10], null, v8, s4, v[4:5]
	s_delay_alu instid0(VALU_DEP_2) | instskip(NEXT) | instid1(VALU_DEP_2)
	v_add_co_u32 v3, vcc_lo, v3, v1
	v_mov_b32_e32 v4, v9
	s_delay_alu instid0(VALU_DEP_1)
	v_add_co_ci_u32_e32 v4, vcc_lo, 0, v4, vcc_lo
	s_waitcnt vmcnt(0)
	global_store_b8 v[3:4], v6, off
	s_branch .LBB26_2
.LBB26_7:
	s_nop 0
	s_sendmsg sendmsg(MSG_DEALLOC_VGPRS)
	s_endpgm
	.section	.rodata,"a",@progbits
	.p2align	6, 0x0
	.amdhsa_kernel batched_transpose_4x64_byte
		.amdhsa_group_segment_fixed_size 0
		.amdhsa_private_segment_fixed_size 0
		.amdhsa_kernarg_size 48
		.amdhsa_user_sgpr_count 15
		.amdhsa_user_sgpr_dispatch_ptr 0
		.amdhsa_user_sgpr_queue_ptr 0
		.amdhsa_user_sgpr_kernarg_segment_ptr 1
		.amdhsa_user_sgpr_dispatch_id 0
		.amdhsa_user_sgpr_private_segment_size 0
		.amdhsa_wavefront_size32 1
		.amdhsa_uses_dynamic_stack 0
		.amdhsa_enable_private_segment 0
		.amdhsa_system_sgpr_workgroup_id_x 1
		.amdhsa_system_sgpr_workgroup_id_y 0
		.amdhsa_system_sgpr_workgroup_id_z 0
		.amdhsa_system_sgpr_workgroup_info 0
		.amdhsa_system_vgpr_workitem_id 0
		.amdhsa_next_free_vgpr 11
		.amdhsa_next_free_sgpr 20
		.amdhsa_reserve_vcc 1
		.amdhsa_float_round_mode_32 0
		.amdhsa_float_round_mode_16_64 0
		.amdhsa_float_denorm_mode_32 3
		.amdhsa_float_denorm_mode_16_64 3
		.amdhsa_dx10_clamp 1
		.amdhsa_ieee_mode 1
		.amdhsa_fp16_overflow 0
		.amdhsa_workgroup_processor_mode 1
		.amdhsa_memory_ordered 1
		.amdhsa_forward_progress 0
		.amdhsa_shared_vgpr_count 0
		.amdhsa_exception_fp_ieee_invalid_op 0
		.amdhsa_exception_fp_denorm_src 0
		.amdhsa_exception_fp_ieee_div_zero 0
		.amdhsa_exception_fp_ieee_overflow 0
		.amdhsa_exception_fp_ieee_underflow 0
		.amdhsa_exception_fp_ieee_inexact 0
		.amdhsa_exception_int_div_zero 0
	.end_amdhsa_kernel
	.text
.Lfunc_end26:
	.size	batched_transpose_4x64_byte, .Lfunc_end26-batched_transpose_4x64_byte
                                        ; -- End function
	.section	.AMDGPU.csdata,"",@progbits
; Kernel info:
; codeLenInByte = 368
; NumSgprs: 22
; NumVgprs: 11
; ScratchSize: 0
; MemoryBound: 0
; FloatMode: 240
; IeeeMode: 1
; LDSByteSize: 0 bytes/workgroup (compile time only)
; SGPRBlocks: 2
; VGPRBlocks: 1
; NumSGPRsForWavesPerEU: 22
; NumVGPRsForWavesPerEU: 11
; Occupancy: 16
; WaveLimiterHint : 0
; COMPUTE_PGM_RSRC2:SCRATCH_EN: 0
; COMPUTE_PGM_RSRC2:USER_SGPR: 15
; COMPUTE_PGM_RSRC2:TRAP_HANDLER: 0
; COMPUTE_PGM_RSRC2:TGID_X_EN: 1
; COMPUTE_PGM_RSRC2:TGID_Y_EN: 0
; COMPUTE_PGM_RSRC2:TGID_Z_EN: 0
; COMPUTE_PGM_RSRC2:TIDIG_COMP_CNT: 0
	.text
	.protected	batched_transpose_64x4_dword ; -- Begin function batched_transpose_64x4_dword
	.globl	batched_transpose_64x4_dword
	.p2align	8
	.type	batched_transpose_64x4_dword,@function
batched_transpose_64x4_dword:           ; @batched_transpose_64x4_dword
; %bb.0:
	s_load_b256 s[4:11], s[0:1], 0x10
	s_waitcnt lgkmcnt(0)
	s_cmp_ge_u32 s15, s7
	s_cbranch_scc1 .LBB27_7
; %bb.1:
	s_load_b128 s[16:19], s[0:1], 0x0
	v_dual_mov_b32 v2, 0 :: v_dual_and_b32 v1, 63, v0
	s_add_i32 s0, s4, 3
	v_lshrrev_b32_e32 v5, 6, v0
	s_lshr_b32 s1, s0, 2
	s_add_i32 s0, s5, 63
	v_lshl_or_b32 v0, s15, 6, v1
	s_and_not1_b32 s0, s0, 63
	s_mov_b32 s2, s5
	s_sub_i32 s3, 0, s0
	s_lshl_b32 s12, s6, 6
                                        ; implicit-def: $vgpr6
	s_branch .LBB27_3
.LBB27_2:                               ;   in Loop: Header=BB27_3 Depth=1
	s_or_b32 exec_lo, exec_lo, s14
	v_add_nc_u32_e32 v0, s12, v0
	s_add_i32 s15, s15, s6
	s_delay_alu instid0(SALU_CYCLE_1)
	s_cmp_lt_u32 s15, s7
	s_cbranch_scc0 .LBB27_7
.LBB27_3:                               ; =>This Inner Loop Header: Depth=1
	s_mul_hi_u32 s0, s10, s15
	s_delay_alu instid0(SALU_CYCLE_1) | instskip(NEXT) | instid1(SALU_CYCLE_1)
	s_add_i32 s0, s15, s0
	s_lshr_b32 s0, s0, s11
	s_delay_alu instid0(SALU_CYCLE_1) | instskip(SKIP_4) | instid1(SALU_CYCLE_1)
	s_mul_hi_u32 s13, s0, s8
	v_mad_u64_u32 v[3:4], null, s3, s0, v[0:1]
	s_add_i32 s13, s0, s13
	v_mov_b32_e32 v4, v2
	s_lshr_b32 s13, s13, s9
	s_mul_i32 s14, s13, s1
	s_delay_alu instid0(SALU_CYCLE_1) | instskip(NEXT) | instid1(SALU_CYCLE_1)
	s_sub_i32 s0, s0, s14
	v_lshl_or_b32 v1, s0, 2, v5
	s_delay_alu instid0(VALU_DEP_3) | instskip(NEXT) | instid1(VALU_DEP_2)
	v_cmp_gt_u32_e64 s0, s5, v3
	v_cmp_gt_u32_e32 vcc_lo, s4, v1
	s_delay_alu instid0(VALU_DEP_2) | instskip(NEXT) | instid1(SALU_CYCLE_1)
	s_and_b32 s0, vcc_lo, s0
	s_and_saveexec_b32 s14, s0
	s_cbranch_execz .LBB27_5
; %bb.4:                                ;   in Loop: Header=BB27_3 Depth=1
	s_waitcnt vmcnt(0)
	v_mad_u64_u32 v[6:7], null, s13, s4, v[1:2]
	s_delay_alu instid0(VALU_DEP_1) | instskip(NEXT) | instid1(VALU_DEP_1)
	v_mad_u64_u32 v[8:9], null, v6, s2, 0
	v_mov_b32_e32 v6, v9
	s_delay_alu instid0(VALU_DEP_1) | instskip(NEXT) | instid1(VALU_DEP_1)
	v_mad_u64_u32 v[9:10], null, v7, s2, v[6:7]
	v_lshlrev_b64 v[6:7], 2, v[8:9]
	v_lshlrev_b64 v[8:9], 2, v[3:4]
	s_waitcnt lgkmcnt(0)
	s_delay_alu instid0(VALU_DEP_2) | instskip(NEXT) | instid1(VALU_DEP_3)
	v_add_co_u32 v6, vcc_lo, s18, v6
	v_add_co_ci_u32_e32 v7, vcc_lo, s19, v7, vcc_lo
	s_delay_alu instid0(VALU_DEP_2) | instskip(NEXT) | instid1(VALU_DEP_2)
	v_add_co_u32 v6, vcc_lo, v6, v8
	v_add_co_ci_u32_e32 v7, vcc_lo, v7, v9, vcc_lo
	global_load_b32 v6, v[6:7], off
.LBB27_5:                               ;   in Loop: Header=BB27_3 Depth=1
	s_or_b32 exec_lo, exec_lo, s14
	s_and_saveexec_b32 s14, s0
	s_cbranch_execz .LBB27_2
; %bb.6:                                ;   in Loop: Header=BB27_3 Depth=1
	v_mad_u64_u32 v[7:8], null, s13, s2, v[3:4]
	s_delay_alu instid0(VALU_DEP_1) | instskip(NEXT) | instid1(VALU_DEP_1)
	v_mad_u64_u32 v[3:4], null, v7, s4, 0
	v_mad_u64_u32 v[9:10], null, v8, s4, v[4:5]
	v_lshlrev_b64 v[7:8], 2, v[1:2]
	s_delay_alu instid0(VALU_DEP_2) | instskip(NEXT) | instid1(VALU_DEP_1)
	v_mov_b32_e32 v4, v9
	v_lshlrev_b64 v[3:4], 2, v[3:4]
	s_waitcnt lgkmcnt(0)
	s_delay_alu instid0(VALU_DEP_1) | instskip(NEXT) | instid1(VALU_DEP_2)
	v_add_co_u32 v1, vcc_lo, s16, v3
	v_add_co_ci_u32_e32 v4, vcc_lo, s17, v4, vcc_lo
	s_delay_alu instid0(VALU_DEP_2) | instskip(NEXT) | instid1(VALU_DEP_2)
	v_add_co_u32 v3, vcc_lo, v1, v7
	v_add_co_ci_u32_e32 v4, vcc_lo, v4, v8, vcc_lo
	s_waitcnt vmcnt(0)
	global_store_b32 v[3:4], v6, off
	s_branch .LBB27_2
.LBB27_7:
	s_nop 0
	s_sendmsg sendmsg(MSG_DEALLOC_VGPRS)
	s_endpgm
	.section	.rodata,"a",@progbits
	.p2align	6, 0x0
	.amdhsa_kernel batched_transpose_64x4_dword
		.amdhsa_group_segment_fixed_size 0
		.amdhsa_private_segment_fixed_size 0
		.amdhsa_kernarg_size 48
		.amdhsa_user_sgpr_count 15
		.amdhsa_user_sgpr_dispatch_ptr 0
		.amdhsa_user_sgpr_queue_ptr 0
		.amdhsa_user_sgpr_kernarg_segment_ptr 1
		.amdhsa_user_sgpr_dispatch_id 0
		.amdhsa_user_sgpr_private_segment_size 0
		.amdhsa_wavefront_size32 1
		.amdhsa_uses_dynamic_stack 0
		.amdhsa_enable_private_segment 0
		.amdhsa_system_sgpr_workgroup_id_x 1
		.amdhsa_system_sgpr_workgroup_id_y 0
		.amdhsa_system_sgpr_workgroup_id_z 0
		.amdhsa_system_sgpr_workgroup_info 0
		.amdhsa_system_vgpr_workitem_id 0
		.amdhsa_next_free_vgpr 11
		.amdhsa_next_free_sgpr 20
		.amdhsa_reserve_vcc 1
		.amdhsa_float_round_mode_32 0
		.amdhsa_float_round_mode_16_64 0
		.amdhsa_float_denorm_mode_32 3
		.amdhsa_float_denorm_mode_16_64 3
		.amdhsa_dx10_clamp 1
		.amdhsa_ieee_mode 1
		.amdhsa_fp16_overflow 0
		.amdhsa_workgroup_processor_mode 1
		.amdhsa_memory_ordered 1
		.amdhsa_forward_progress 0
		.amdhsa_shared_vgpr_count 0
		.amdhsa_exception_fp_ieee_invalid_op 0
		.amdhsa_exception_fp_denorm_src 0
		.amdhsa_exception_fp_ieee_div_zero 0
		.amdhsa_exception_fp_ieee_overflow 0
		.amdhsa_exception_fp_ieee_underflow 0
		.amdhsa_exception_fp_ieee_inexact 0
		.amdhsa_exception_int_div_zero 0
	.end_amdhsa_kernel
	.text
.Lfunc_end27:
	.size	batched_transpose_64x4_dword, .Lfunc_end27-batched_transpose_64x4_dword
                                        ; -- End function
	.section	.AMDGPU.csdata,"",@progbits
; Kernel info:
; codeLenInByte = 428
; NumSgprs: 22
; NumVgprs: 11
; ScratchSize: 0
; MemoryBound: 0
; FloatMode: 240
; IeeeMode: 1
; LDSByteSize: 0 bytes/workgroup (compile time only)
; SGPRBlocks: 2
; VGPRBlocks: 1
; NumSGPRsForWavesPerEU: 22
; NumVGPRsForWavesPerEU: 11
; Occupancy: 16
; WaveLimiterHint : 0
; COMPUTE_PGM_RSRC2:SCRATCH_EN: 0
; COMPUTE_PGM_RSRC2:USER_SGPR: 15
; COMPUTE_PGM_RSRC2:TRAP_HANDLER: 0
; COMPUTE_PGM_RSRC2:TGID_X_EN: 1
; COMPUTE_PGM_RSRC2:TGID_Y_EN: 0
; COMPUTE_PGM_RSRC2:TGID_Z_EN: 0
; COMPUTE_PGM_RSRC2:TIDIG_COMP_CNT: 0
	.text
	.protected	batched_transpose_64x4_half ; -- Begin function batched_transpose_64x4_half
	.globl	batched_transpose_64x4_half
	.p2align	8
	.type	batched_transpose_64x4_half,@function
batched_transpose_64x4_half:            ; @batched_transpose_64x4_half
; %bb.0:
	s_load_b256 s[4:11], s[0:1], 0x10
	s_waitcnt lgkmcnt(0)
	s_cmp_ge_u32 s15, s7
	s_cbranch_scc1 .LBB28_7
; %bb.1:
	s_load_b128 s[16:19], s[0:1], 0x0
	v_dual_mov_b32 v2, 0 :: v_dual_and_b32 v1, 63, v0
	s_add_i32 s0, s4, 3
	v_lshrrev_b32_e32 v5, 6, v0
	s_lshr_b32 s1, s0, 2
	s_add_i32 s0, s5, 63
	v_lshl_or_b32 v0, s15, 6, v1
	s_and_not1_b32 s0, s0, 63
	s_mov_b32 s2, s5
	s_sub_i32 s3, 0, s0
	s_lshl_b32 s12, s6, 6
                                        ; implicit-def: $vgpr6
	s_branch .LBB28_3
.LBB28_2:                               ;   in Loop: Header=BB28_3 Depth=1
	s_or_b32 exec_lo, exec_lo, s14
	v_add_nc_u32_e32 v0, s12, v0
	s_add_i32 s15, s15, s6
	s_delay_alu instid0(SALU_CYCLE_1)
	s_cmp_lt_u32 s15, s7
	s_cbranch_scc0 .LBB28_7
.LBB28_3:                               ; =>This Inner Loop Header: Depth=1
	s_mul_hi_u32 s0, s10, s15
	s_delay_alu instid0(SALU_CYCLE_1) | instskip(NEXT) | instid1(SALU_CYCLE_1)
	s_add_i32 s0, s15, s0
	s_lshr_b32 s0, s0, s11
	s_delay_alu instid0(SALU_CYCLE_1) | instskip(SKIP_4) | instid1(SALU_CYCLE_1)
	s_mul_hi_u32 s13, s0, s8
	v_mad_u64_u32 v[3:4], null, s3, s0, v[0:1]
	s_add_i32 s13, s0, s13
	v_mov_b32_e32 v4, v2
	s_lshr_b32 s13, s13, s9
	s_mul_i32 s14, s13, s1
	s_delay_alu instid0(SALU_CYCLE_1) | instskip(NEXT) | instid1(SALU_CYCLE_1)
	s_sub_i32 s0, s0, s14
	v_lshl_or_b32 v1, s0, 2, v5
	s_delay_alu instid0(VALU_DEP_3) | instskip(NEXT) | instid1(VALU_DEP_2)
	v_cmp_gt_u32_e64 s0, s5, v3
	v_cmp_gt_u32_e32 vcc_lo, s4, v1
	s_delay_alu instid0(VALU_DEP_2) | instskip(NEXT) | instid1(SALU_CYCLE_1)
	s_and_b32 s0, vcc_lo, s0
	s_and_saveexec_b32 s14, s0
	s_cbranch_execz .LBB28_5
; %bb.4:                                ;   in Loop: Header=BB28_3 Depth=1
	s_waitcnt vmcnt(0)
	v_mad_u64_u32 v[6:7], null, s13, s4, v[1:2]
	s_delay_alu instid0(VALU_DEP_1) | instskip(NEXT) | instid1(VALU_DEP_1)
	v_mad_u64_u32 v[8:9], null, v6, s2, 0
	v_mov_b32_e32 v6, v9
	s_delay_alu instid0(VALU_DEP_1) | instskip(NEXT) | instid1(VALU_DEP_1)
	v_mad_u64_u32 v[9:10], null, v7, s2, v[6:7]
	v_lshlrev_b64 v[6:7], 1, v[8:9]
	v_lshlrev_b64 v[8:9], 1, v[3:4]
	s_waitcnt lgkmcnt(0)
	s_delay_alu instid0(VALU_DEP_2) | instskip(NEXT) | instid1(VALU_DEP_3)
	v_add_co_u32 v6, vcc_lo, s18, v6
	v_add_co_ci_u32_e32 v7, vcc_lo, s19, v7, vcc_lo
	s_delay_alu instid0(VALU_DEP_2) | instskip(NEXT) | instid1(VALU_DEP_2)
	v_add_co_u32 v6, vcc_lo, v6, v8
	v_add_co_ci_u32_e32 v7, vcc_lo, v7, v9, vcc_lo
	global_load_u16 v6, v[6:7], off
.LBB28_5:                               ;   in Loop: Header=BB28_3 Depth=1
	s_or_b32 exec_lo, exec_lo, s14
	s_and_saveexec_b32 s14, s0
	s_cbranch_execz .LBB28_2
; %bb.6:                                ;   in Loop: Header=BB28_3 Depth=1
	v_mad_u64_u32 v[7:8], null, s13, s2, v[3:4]
	s_delay_alu instid0(VALU_DEP_1) | instskip(NEXT) | instid1(VALU_DEP_1)
	v_mad_u64_u32 v[3:4], null, v7, s4, 0
	v_mad_u64_u32 v[9:10], null, v8, s4, v[4:5]
	v_lshlrev_b64 v[7:8], 1, v[1:2]
	s_delay_alu instid0(VALU_DEP_2) | instskip(NEXT) | instid1(VALU_DEP_1)
	v_mov_b32_e32 v4, v9
	v_lshlrev_b64 v[3:4], 1, v[3:4]
	s_waitcnt lgkmcnt(0)
	s_delay_alu instid0(VALU_DEP_1) | instskip(NEXT) | instid1(VALU_DEP_2)
	v_add_co_u32 v1, vcc_lo, s16, v3
	v_add_co_ci_u32_e32 v4, vcc_lo, s17, v4, vcc_lo
	s_delay_alu instid0(VALU_DEP_2) | instskip(NEXT) | instid1(VALU_DEP_2)
	v_add_co_u32 v3, vcc_lo, v1, v7
	v_add_co_ci_u32_e32 v4, vcc_lo, v4, v8, vcc_lo
	s_waitcnt vmcnt(0)
	global_store_b16 v[3:4], v6, off
	s_branch .LBB28_2
.LBB28_7:
	s_nop 0
	s_sendmsg sendmsg(MSG_DEALLOC_VGPRS)
	s_endpgm
	.section	.rodata,"a",@progbits
	.p2align	6, 0x0
	.amdhsa_kernel batched_transpose_64x4_half
		.amdhsa_group_segment_fixed_size 0
		.amdhsa_private_segment_fixed_size 0
		.amdhsa_kernarg_size 48
		.amdhsa_user_sgpr_count 15
		.amdhsa_user_sgpr_dispatch_ptr 0
		.amdhsa_user_sgpr_queue_ptr 0
		.amdhsa_user_sgpr_kernarg_segment_ptr 1
		.amdhsa_user_sgpr_dispatch_id 0
		.amdhsa_user_sgpr_private_segment_size 0
		.amdhsa_wavefront_size32 1
		.amdhsa_uses_dynamic_stack 0
		.amdhsa_enable_private_segment 0
		.amdhsa_system_sgpr_workgroup_id_x 1
		.amdhsa_system_sgpr_workgroup_id_y 0
		.amdhsa_system_sgpr_workgroup_id_z 0
		.amdhsa_system_sgpr_workgroup_info 0
		.amdhsa_system_vgpr_workitem_id 0
		.amdhsa_next_free_vgpr 11
		.amdhsa_next_free_sgpr 20
		.amdhsa_reserve_vcc 1
		.amdhsa_float_round_mode_32 0
		.amdhsa_float_round_mode_16_64 0
		.amdhsa_float_denorm_mode_32 3
		.amdhsa_float_denorm_mode_16_64 3
		.amdhsa_dx10_clamp 1
		.amdhsa_ieee_mode 1
		.amdhsa_fp16_overflow 0
		.amdhsa_workgroup_processor_mode 1
		.amdhsa_memory_ordered 1
		.amdhsa_forward_progress 0
		.amdhsa_shared_vgpr_count 0
		.amdhsa_exception_fp_ieee_invalid_op 0
		.amdhsa_exception_fp_denorm_src 0
		.amdhsa_exception_fp_ieee_div_zero 0
		.amdhsa_exception_fp_ieee_overflow 0
		.amdhsa_exception_fp_ieee_underflow 0
		.amdhsa_exception_fp_ieee_inexact 0
		.amdhsa_exception_int_div_zero 0
	.end_amdhsa_kernel
	.text
.Lfunc_end28:
	.size	batched_transpose_64x4_half, .Lfunc_end28-batched_transpose_64x4_half
                                        ; -- End function
	.section	.AMDGPU.csdata,"",@progbits
; Kernel info:
; codeLenInByte = 428
; NumSgprs: 22
; NumVgprs: 11
; ScratchSize: 0
; MemoryBound: 0
; FloatMode: 240
; IeeeMode: 1
; LDSByteSize: 0 bytes/workgroup (compile time only)
; SGPRBlocks: 2
; VGPRBlocks: 1
; NumSGPRsForWavesPerEU: 22
; NumVGPRsForWavesPerEU: 11
; Occupancy: 16
; WaveLimiterHint : 0
; COMPUTE_PGM_RSRC2:SCRATCH_EN: 0
; COMPUTE_PGM_RSRC2:USER_SGPR: 15
; COMPUTE_PGM_RSRC2:TRAP_HANDLER: 0
; COMPUTE_PGM_RSRC2:TGID_X_EN: 1
; COMPUTE_PGM_RSRC2:TGID_Y_EN: 0
; COMPUTE_PGM_RSRC2:TGID_Z_EN: 0
; COMPUTE_PGM_RSRC2:TIDIG_COMP_CNT: 0
	.text
	.protected	batched_transpose_64x4_byte ; -- Begin function batched_transpose_64x4_byte
	.globl	batched_transpose_64x4_byte
	.p2align	8
	.type	batched_transpose_64x4_byte,@function
batched_transpose_64x4_byte:            ; @batched_transpose_64x4_byte
; %bb.0:
	s_load_b256 s[4:11], s[0:1], 0x10
	s_waitcnt lgkmcnt(0)
	s_cmp_ge_u32 s15, s7
	s_cbranch_scc1 .LBB29_7
; %bb.1:
	s_load_b128 s[16:19], s[0:1], 0x0
	v_dual_mov_b32 v2, 0 :: v_dual_and_b32 v1, 63, v0
	s_add_i32 s0, s4, 3
	v_lshrrev_b32_e32 v5, 6, v0
	s_lshr_b32 s1, s0, 2
	s_add_i32 s0, s5, 63
	v_lshl_or_b32 v0, s15, 6, v1
	s_and_not1_b32 s0, s0, 63
	s_mov_b32 s2, s5
	s_sub_i32 s3, 0, s0
	s_lshl_b32 s12, s6, 6
                                        ; implicit-def: $vgpr6
	s_branch .LBB29_3
.LBB29_2:                               ;   in Loop: Header=BB29_3 Depth=1
	s_or_b32 exec_lo, exec_lo, s14
	v_add_nc_u32_e32 v0, s12, v0
	s_add_i32 s15, s15, s6
	s_delay_alu instid0(SALU_CYCLE_1)
	s_cmp_lt_u32 s15, s7
	s_cbranch_scc0 .LBB29_7
.LBB29_3:                               ; =>This Inner Loop Header: Depth=1
	s_mul_hi_u32 s0, s10, s15
	s_delay_alu instid0(SALU_CYCLE_1) | instskip(NEXT) | instid1(SALU_CYCLE_1)
	s_add_i32 s0, s15, s0
	s_lshr_b32 s0, s0, s11
	s_delay_alu instid0(SALU_CYCLE_1) | instskip(SKIP_4) | instid1(SALU_CYCLE_1)
	s_mul_hi_u32 s13, s0, s8
	v_mad_u64_u32 v[3:4], null, s3, s0, v[0:1]
	s_add_i32 s13, s0, s13
	v_mov_b32_e32 v4, v2
	s_lshr_b32 s13, s13, s9
	s_mul_i32 s14, s13, s1
	s_delay_alu instid0(SALU_CYCLE_1) | instskip(NEXT) | instid1(SALU_CYCLE_1)
	s_sub_i32 s0, s0, s14
	v_lshl_or_b32 v1, s0, 2, v5
	s_delay_alu instid0(VALU_DEP_3) | instskip(NEXT) | instid1(VALU_DEP_2)
	v_cmp_gt_u32_e64 s0, s5, v3
	v_cmp_gt_u32_e32 vcc_lo, s4, v1
	s_delay_alu instid0(VALU_DEP_2) | instskip(NEXT) | instid1(SALU_CYCLE_1)
	s_and_b32 s0, vcc_lo, s0
	s_and_saveexec_b32 s14, s0
	s_cbranch_execz .LBB29_5
; %bb.4:                                ;   in Loop: Header=BB29_3 Depth=1
	s_waitcnt vmcnt(0)
	v_mad_u64_u32 v[6:7], null, s13, s4, v[1:2]
	s_waitcnt lgkmcnt(0)
	s_delay_alu instid0(VALU_DEP_1) | instskip(NEXT) | instid1(VALU_DEP_1)
	v_mad_u64_u32 v[8:9], null, v6, s2, s[18:19]
	v_mov_b32_e32 v6, v9
	s_delay_alu instid0(VALU_DEP_1) | instskip(NEXT) | instid1(VALU_DEP_3)
	v_mad_u64_u32 v[9:10], null, v7, s2, v[6:7]
	v_add_co_u32 v6, vcc_lo, v8, v3
	s_delay_alu instid0(VALU_DEP_2) | instskip(NEXT) | instid1(VALU_DEP_1)
	v_mov_b32_e32 v7, v9
	v_add_co_ci_u32_e32 v7, vcc_lo, 0, v7, vcc_lo
	global_load_u8 v6, v[6:7], off
.LBB29_5:                               ;   in Loop: Header=BB29_3 Depth=1
	s_or_b32 exec_lo, exec_lo, s14
	s_and_saveexec_b32 s14, s0
	s_cbranch_execz .LBB29_2
; %bb.6:                                ;   in Loop: Header=BB29_3 Depth=1
	v_mad_u64_u32 v[7:8], null, s13, s2, v[3:4]
	s_waitcnt lgkmcnt(0)
	s_delay_alu instid0(VALU_DEP_1) | instskip(NEXT) | instid1(VALU_DEP_1)
	v_mad_u64_u32 v[3:4], null, v7, s4, s[16:17]
	v_mad_u64_u32 v[9:10], null, v8, s4, v[4:5]
	s_delay_alu instid0(VALU_DEP_2) | instskip(NEXT) | instid1(VALU_DEP_2)
	v_add_co_u32 v3, vcc_lo, v3, v1
	v_mov_b32_e32 v4, v9
	s_delay_alu instid0(VALU_DEP_1)
	v_add_co_ci_u32_e32 v4, vcc_lo, 0, v4, vcc_lo
	s_waitcnt vmcnt(0)
	global_store_b8 v[3:4], v6, off
	s_branch .LBB29_2
.LBB29_7:
	s_nop 0
	s_sendmsg sendmsg(MSG_DEALLOC_VGPRS)
	s_endpgm
	.section	.rodata,"a",@progbits
	.p2align	6, 0x0
	.amdhsa_kernel batched_transpose_64x4_byte
		.amdhsa_group_segment_fixed_size 0
		.amdhsa_private_segment_fixed_size 0
		.amdhsa_kernarg_size 48
		.amdhsa_user_sgpr_count 15
		.amdhsa_user_sgpr_dispatch_ptr 0
		.amdhsa_user_sgpr_queue_ptr 0
		.amdhsa_user_sgpr_kernarg_segment_ptr 1
		.amdhsa_user_sgpr_dispatch_id 0
		.amdhsa_user_sgpr_private_segment_size 0
		.amdhsa_wavefront_size32 1
		.amdhsa_uses_dynamic_stack 0
		.amdhsa_enable_private_segment 0
		.amdhsa_system_sgpr_workgroup_id_x 1
		.amdhsa_system_sgpr_workgroup_id_y 0
		.amdhsa_system_sgpr_workgroup_id_z 0
		.amdhsa_system_sgpr_workgroup_info 0
		.amdhsa_system_vgpr_workitem_id 0
		.amdhsa_next_free_vgpr 11
		.amdhsa_next_free_sgpr 20
		.amdhsa_reserve_vcc 1
		.amdhsa_float_round_mode_32 0
		.amdhsa_float_round_mode_16_64 0
		.amdhsa_float_denorm_mode_32 3
		.amdhsa_float_denorm_mode_16_64 3
		.amdhsa_dx10_clamp 1
		.amdhsa_ieee_mode 1
		.amdhsa_fp16_overflow 0
		.amdhsa_workgroup_processor_mode 1
		.amdhsa_memory_ordered 1
		.amdhsa_forward_progress 0
		.amdhsa_shared_vgpr_count 0
		.amdhsa_exception_fp_ieee_invalid_op 0
		.amdhsa_exception_fp_denorm_src 0
		.amdhsa_exception_fp_ieee_div_zero 0
		.amdhsa_exception_fp_ieee_overflow 0
		.amdhsa_exception_fp_ieee_underflow 0
		.amdhsa_exception_fp_ieee_inexact 0
		.amdhsa_exception_int_div_zero 0
	.end_amdhsa_kernel
	.text
.Lfunc_end29:
	.size	batched_transpose_64x4_byte, .Lfunc_end29-batched_transpose_64x4_byte
                                        ; -- End function
	.section	.AMDGPU.csdata,"",@progbits
; Kernel info:
; codeLenInByte = 368
; NumSgprs: 22
; NumVgprs: 11
; ScratchSize: 0
; MemoryBound: 0
; FloatMode: 240
; IeeeMode: 1
; LDSByteSize: 0 bytes/workgroup (compile time only)
; SGPRBlocks: 2
; VGPRBlocks: 1
; NumSGPRsForWavesPerEU: 22
; NumVGPRsForWavesPerEU: 11
; Occupancy: 16
; WaveLimiterHint : 0
; COMPUTE_PGM_RSRC2:SCRATCH_EN: 0
; COMPUTE_PGM_RSRC2:USER_SGPR: 15
; COMPUTE_PGM_RSRC2:TRAP_HANDLER: 0
; COMPUTE_PGM_RSRC2:TGID_X_EN: 1
; COMPUTE_PGM_RSRC2:TGID_Y_EN: 0
; COMPUTE_PGM_RSRC2:TGID_Z_EN: 0
; COMPUTE_PGM_RSRC2:TIDIG_COMP_CNT: 0
	.text
	.protected	batched_transpose_32x32_pack_2x2_ediv_2x2_half ; -- Begin function batched_transpose_32x32_pack_2x2_ediv_2x2_half
	.globl	batched_transpose_32x32_pack_2x2_ediv_2x2_half
	.p2align	8
	.type	batched_transpose_32x32_pack_2x2_ediv_2x2_half,@function
batched_transpose_32x32_pack_2x2_ediv_2x2_half: ; @batched_transpose_32x32_pack_2x2_ediv_2x2_half
; %bb.0:
	s_load_b256 s[4:11], s[0:1], 0x10
	s_waitcnt lgkmcnt(0)
	s_cmp_ge_u32 s15, s7
	s_cbranch_scc1 .LBB30_7
; %bb.1:
	s_load_b128 s[16:19], s[0:1], 0x0
	v_dual_mov_b32 v3, 0 :: v_dual_and_b32 v6, 15, v0
	v_lshrrev_b32_e32 v0, 4, v0
	s_add_i32 s0, s4, 31
	s_mov_b32 s13, 0
	s_delay_alu instid0(VALU_DEP_2)
	v_mul_u32_u24_e32 v1, 17, v6
	s_lshr_b32 s1, s0, 5
	v_mul_u32_u24_e32 v2, 17, v0
	v_lshlrev_b32_e32 v7, 1, v0
	s_add_i32 s0, s5, 31
	v_add_lshl_u32 v8, v1, v0, 2
	s_and_b32 s20, s0, 0xffffffe0
	s_lshr_b32 s0, s0, 1
	v_add_lshl_u32 v9, v2, v6, 2
	v_lshl_or_b32 v0, s15, 5, v7
	v_lshl_or_b32 v1, s15, 4, v6
	s_lshr_b32 s2, s4, 1
	s_lshr_b32 s12, s5, 1
	s_mov_b32 s3, s13
	s_and_b32 s0, s0, 0x7ffffff0
	s_mov_b32 s14, s5
	s_sub_i32 s24, 0, s20
	s_lshl_b32 s25, s6, 5
	s_sub_i32 s26, 0, s0
	s_lshl_b32 s27, s6, 4
	s_lshl_b64 s[20:21], s[12:13], 2
	s_lshl_b64 s[22:23], s[2:3], 2
	s_branch .LBB30_3
.LBB30_2:                               ;   in Loop: Header=BB30_3 Depth=1
	s_or_b32 exec_lo, exec_lo, s0
	v_add_nc_u32_e32 v0, s25, v0
	v_add_nc_u32_e32 v1, s27, v1
	s_add_i32 s15, s15, s6
	s_delay_alu instid0(SALU_CYCLE_1)
	s_cmp_lt_u32 s15, s7
	s_cbranch_scc0 .LBB30_7
.LBB30_3:                               ; =>This Inner Loop Header: Depth=1
	s_mul_hi_u32 s0, s10, s15
	s_waitcnt lgkmcnt(0)
	s_add_i32 s0, s15, s0
	s_waitcnt_vscnt null, 0x0
	s_barrier
	s_lshr_b32 s13, s0, s11
	buffer_gl0_inv
	s_mul_hi_u32 s0, s13, s8
	v_mad_u64_u32 v[4:5], null, s26, s13, v[1:2]
	s_add_i32 s0, s13, s0
	s_delay_alu instid0(SALU_CYCLE_1) | instskip(NEXT) | instid1(SALU_CYCLE_1)
	s_lshr_b32 s3, s0, s9
	s_mul_i32 s0, s3, s1
	s_delay_alu instid0(SALU_CYCLE_1) | instskip(NEXT) | instid1(VALU_DEP_1)
	s_sub_i32 s28, s13, s0
	v_cmp_gt_u32_e64 s0, s12, v4
	v_lshl_or_b32 v2, s28, 5, v7
	s_delay_alu instid0(VALU_DEP_1) | instskip(NEXT) | instid1(VALU_DEP_3)
	v_cmp_gt_u32_e32 vcc_lo, s4, v2
	s_and_b32 s29, vcc_lo, s0
	s_delay_alu instid0(SALU_CYCLE_1)
	s_and_saveexec_b32 s0, s29
	s_cbranch_execz .LBB30_5
; %bb.4:                                ;   in Loop: Header=BB30_3 Depth=1
	v_mad_u64_u32 v[10:11], null, s3, s4, v[2:3]
	v_mov_b32_e32 v5, v3
	s_delay_alu instid0(VALU_DEP_1) | instskip(NEXT) | instid1(VALU_DEP_3)
	v_lshlrev_b64 v[4:5], 2, v[4:5]
	v_mad_u64_u32 v[12:13], null, v10, s12, 0
	s_delay_alu instid0(VALU_DEP_1) | instskip(NEXT) | instid1(VALU_DEP_1)
	v_mov_b32_e32 v2, v13
	v_mad_u64_u32 v[13:14], null, v11, s12, v[2:3]
	s_delay_alu instid0(VALU_DEP_1) | instskip(NEXT) | instid1(VALU_DEP_1)
	v_lshlrev_b64 v[10:11], 2, v[12:13]
	v_add_co_u32 v2, vcc_lo, s18, v10
	s_delay_alu instid0(VALU_DEP_2) | instskip(NEXT) | instid1(VALU_DEP_2)
	v_add_co_ci_u32_e32 v10, vcc_lo, s19, v11, vcc_lo
	v_add_co_u32 v4, vcc_lo, v2, v4
	s_delay_alu instid0(VALU_DEP_2) | instskip(NEXT) | instid1(VALU_DEP_2)
	v_add_co_ci_u32_e32 v5, vcc_lo, v10, v5, vcc_lo
	v_add_co_u32 v10, vcc_lo, v4, s20
	s_delay_alu instid0(VALU_DEP_2)
	v_add_co_ci_u32_e32 v11, vcc_lo, s21, v5, vcc_lo
	s_clause 0x1
	global_load_b32 v2, v[4:5], off
	global_load_b32 v4, v[10:11], off
	s_waitcnt vmcnt(1)
	v_and_b32_e32 v5, 0xffff, v2
	v_lshrrev_b32_e32 v2, 16, v2
	s_waitcnt vmcnt(0)
	s_delay_alu instid0(VALU_DEP_2) | instskip(NEXT) | instid1(VALU_DEP_2)
	v_lshl_or_b32 v5, v4, 16, v5
	v_and_or_b32 v2, 0xffff0000, v4, v2
	ds_store_b32 v8, v5
	ds_store_b32 v8, v2 offset:1088
.LBB30_5:                               ;   in Loop: Header=BB30_3 Depth=1
	s_or_b32 exec_lo, exec_lo, s0
	v_mad_u64_u32 v[4:5], null, s24, s13, v[0:1]
	v_lshl_or_b32 v2, s28, 4, v6
	s_waitcnt lgkmcnt(0)
	s_barrier
	buffer_gl0_inv
	v_cmp_gt_u32_e32 vcc_lo, s2, v2
	v_cmp_gt_u32_e64 s0, s5, v4
	s_delay_alu instid0(VALU_DEP_1) | instskip(NEXT) | instid1(SALU_CYCLE_1)
	s_and_b32 s13, s0, vcc_lo
	s_and_saveexec_b32 s0, s13
	s_cbranch_execz .LBB30_2
; %bb.6:                                ;   in Loop: Header=BB30_3 Depth=1
	v_mov_b32_e32 v5, v3
	s_delay_alu instid0(VALU_DEP_1) | instskip(NEXT) | instid1(VALU_DEP_1)
	v_mad_u64_u32 v[10:11], null, s3, s14, v[4:5]
	v_mad_u64_u32 v[4:5], null, v10, s2, 0
	s_delay_alu instid0(VALU_DEP_1) | instskip(SKIP_1) | instid1(VALU_DEP_2)
	v_mad_u64_u32 v[12:13], null, v11, s2, v[5:6]
	v_lshlrev_b64 v[10:11], 2, v[2:3]
	v_mov_b32_e32 v5, v12
	ds_load_b32 v12, v9
	ds_load_b32 v13, v9 offset:1088
	v_lshlrev_b64 v[4:5], 2, v[4:5]
	s_delay_alu instid0(VALU_DEP_1) | instskip(NEXT) | instid1(VALU_DEP_2)
	v_add_co_u32 v2, vcc_lo, s16, v4
	v_add_co_ci_u32_e32 v5, vcc_lo, s17, v5, vcc_lo
	s_delay_alu instid0(VALU_DEP_2) | instskip(NEXT) | instid1(VALU_DEP_2)
	v_add_co_u32 v4, vcc_lo, v2, v10
	v_add_co_ci_u32_e32 v5, vcc_lo, v5, v11, vcc_lo
	s_delay_alu instid0(VALU_DEP_2) | instskip(NEXT) | instid1(VALU_DEP_2)
	v_add_co_u32 v10, vcc_lo, v4, s22
	v_add_co_ci_u32_e32 v11, vcc_lo, s23, v5, vcc_lo
	s_waitcnt lgkmcnt(1)
	global_store_b32 v[4:5], v12, off
	s_waitcnt lgkmcnt(0)
	global_store_b32 v[10:11], v13, off
	s_branch .LBB30_2
.LBB30_7:
	s_nop 0
	s_sendmsg sendmsg(MSG_DEALLOC_VGPRS)
	s_endpgm
	.section	.rodata,"a",@progbits
	.p2align	6, 0x0
	.amdhsa_kernel batched_transpose_32x32_pack_2x2_ediv_2x2_half
		.amdhsa_group_segment_fixed_size 2176
		.amdhsa_private_segment_fixed_size 0
		.amdhsa_kernarg_size 48
		.amdhsa_user_sgpr_count 15
		.amdhsa_user_sgpr_dispatch_ptr 0
		.amdhsa_user_sgpr_queue_ptr 0
		.amdhsa_user_sgpr_kernarg_segment_ptr 1
		.amdhsa_user_sgpr_dispatch_id 0
		.amdhsa_user_sgpr_private_segment_size 0
		.amdhsa_wavefront_size32 1
		.amdhsa_uses_dynamic_stack 0
		.amdhsa_enable_private_segment 0
		.amdhsa_system_sgpr_workgroup_id_x 1
		.amdhsa_system_sgpr_workgroup_id_y 0
		.amdhsa_system_sgpr_workgroup_id_z 0
		.amdhsa_system_sgpr_workgroup_info 0
		.amdhsa_system_vgpr_workitem_id 0
		.amdhsa_next_free_vgpr 15
		.amdhsa_next_free_sgpr 30
		.amdhsa_reserve_vcc 1
		.amdhsa_float_round_mode_32 0
		.amdhsa_float_round_mode_16_64 0
		.amdhsa_float_denorm_mode_32 3
		.amdhsa_float_denorm_mode_16_64 3
		.amdhsa_dx10_clamp 1
		.amdhsa_ieee_mode 1
		.amdhsa_fp16_overflow 0
		.amdhsa_workgroup_processor_mode 1
		.amdhsa_memory_ordered 1
		.amdhsa_forward_progress 0
		.amdhsa_shared_vgpr_count 0
		.amdhsa_exception_fp_ieee_invalid_op 0
		.amdhsa_exception_fp_denorm_src 0
		.amdhsa_exception_fp_ieee_div_zero 0
		.amdhsa_exception_fp_ieee_overflow 0
		.amdhsa_exception_fp_ieee_underflow 0
		.amdhsa_exception_fp_ieee_inexact 0
		.amdhsa_exception_int_div_zero 0
	.end_amdhsa_kernel
	.text
.Lfunc_end30:
	.size	batched_transpose_32x32_pack_2x2_ediv_2x2_half, .Lfunc_end30-batched_transpose_32x32_pack_2x2_ediv_2x2_half
                                        ; -- End function
	.section	.AMDGPU.csdata,"",@progbits
; Kernel info:
; codeLenInByte = 716
; NumSgprs: 32
; NumVgprs: 15
; ScratchSize: 0
; MemoryBound: 0
; FloatMode: 240
; IeeeMode: 1
; LDSByteSize: 2176 bytes/workgroup (compile time only)
; SGPRBlocks: 3
; VGPRBlocks: 1
; NumSGPRsForWavesPerEU: 32
; NumVGPRsForWavesPerEU: 15
; Occupancy: 16
; WaveLimiterHint : 0
; COMPUTE_PGM_RSRC2:SCRATCH_EN: 0
; COMPUTE_PGM_RSRC2:USER_SGPR: 15
; COMPUTE_PGM_RSRC2:TRAP_HANDLER: 0
; COMPUTE_PGM_RSRC2:TGID_X_EN: 1
; COMPUTE_PGM_RSRC2:TGID_Y_EN: 0
; COMPUTE_PGM_RSRC2:TGID_Z_EN: 0
; COMPUTE_PGM_RSRC2:TIDIG_COMP_CNT: 0
	.text
	.protected	batched_transpose_32x32_pack_2x2_ediv_1x2_half ; -- Begin function batched_transpose_32x32_pack_2x2_ediv_1x2_half
	.globl	batched_transpose_32x32_pack_2x2_ediv_1x2_half
	.p2align	8
	.type	batched_transpose_32x32_pack_2x2_ediv_1x2_half,@function
batched_transpose_32x32_pack_2x2_ediv_1x2_half: ; @batched_transpose_32x32_pack_2x2_ediv_1x2_half
; %bb.0:
	s_load_b256 s[4:11], s[0:1], 0x10
	s_waitcnt lgkmcnt(0)
	s_cmp_ge_u32 s15, s7
	s_cbranch_scc1 .LBB31_11
; %bb.1:
	s_load_b128 s[16:19], s[0:1], 0x0
	v_and_b32_e32 v7, 15, v0
	v_lshrrev_b32_e32 v8, 4, v0
	s_lshr_b32 s1, s4, 1
	s_mov_b32 s3, 0
	s_lshl_b32 s12, s1, 4
	v_mul_u32_u24_e32 v0, 17, v7
	v_mul_u32_u24_e32 v2, 17, v8
	s_mov_b32 s13, s3
	s_add_i32 s0, s4, 31
	s_lshl_b64 s[12:13], s[12:13], 2
	s_add_i32 s22, s5, 31
	s_lshr_b32 s14, s0, 5
	v_mov_b32_e32 v1, 0
	v_lshlrev_b32_e32 v9, 1, v8
	v_add_lshl_u32 v10, v0, v8, 2
	v_add_lshl_u32 v11, v2, v7, 2
	s_mov_b32 s2, s5
                                        ; implicit-def: $vgpr2_vgpr3
	s_waitcnt lgkmcnt(0)
	s_add_u32 s20, s16, s12
	s_addc_u32 s21, s17, s13
	s_and_b32 s0, s22, 0xffffffe0
	s_lshl_b32 s22, s15, 5
	s_lshl_b32 s23, s6, 5
	s_sub_i32 s24, 0, s0
	s_lshl_b64 s[12:13], s[2:3], 1
	s_branch .LBB31_3
.LBB31_2:                               ;   in Loop: Header=BB31_3 Depth=1
	s_or_b32 exec_lo, exec_lo, s0
	s_add_i32 s15, s15, s6
	s_add_i32 s22, s22, s23
	s_cmp_lt_u32 s15, s7
	s_cbranch_scc0 .LBB31_11
.LBB31_3:                               ; =>This Inner Loop Header: Depth=1
	s_mul_hi_u32 s0, s10, s15
	v_mov_b32_e32 v5, v1
	s_add_i32 s0, s15, s0
	s_delay_alu instid0(SALU_CYCLE_1)
	s_lshr_b32 s0, s0, s11
	s_waitcnt lgkmcnt(0)
	s_waitcnt_vscnt null, 0x0
	s_barrier
	s_mul_hi_u32 s3, s0, s8
	s_mul_i32 s26, s24, s0
	s_add_i32 s3, s0, s3
	v_add3_u32 v4, s26, s22, v7
	s_lshr_b32 s3, s3, s9
	buffer_gl0_inv
	s_mul_i32 s25, s3, s14
	s_delay_alu instid0(SALU_CYCLE_1) | instskip(SKIP_2) | instid1(VALU_DEP_1)
	s_sub_i32 s25, s0, s25
	v_cmp_gt_u32_e64 s0, s5, v4
	v_lshl_or_b32 v0, s25, 5, v9
	v_mad_u64_u32 v[12:13], null, s3, s4, v[0:1]
	v_cmp_gt_u32_e32 vcc_lo, s4, v0
	s_delay_alu instid0(VALU_DEP_4) | instskip(NEXT) | instid1(VALU_DEP_2)
	s_and_b32 s0, vcc_lo, s0
	v_mad_u64_u32 v[14:15], null, v12, s2, v[4:5]
	s_delay_alu instid0(VALU_DEP_1) | instskip(NEXT) | instid1(VALU_DEP_1)
	v_mov_b32_e32 v5, v15
	v_mad_u64_u32 v[15:16], null, v13, s2, v[5:6]
	s_delay_alu instid0(VALU_DEP_1)
	v_lshlrev_b64 v[5:6], 1, v[14:15]
	s_and_saveexec_b32 s27, s0
; %bb.4:                                ;   in Loop: Header=BB31_3 Depth=1
	s_delay_alu instid0(VALU_DEP_1) | instskip(NEXT) | instid1(VALU_DEP_1)
	v_add_co_u32 v12, s0, s18, v5
	v_add_co_ci_u32_e64 v13, s0, s19, v6, s0
	s_delay_alu instid0(VALU_DEP_2) | instskip(NEXT) | instid1(VALU_DEP_1)
	v_add_co_u32 v14, s0, v12, s12
	v_add_co_ci_u32_e64 v15, s0, s13, v13, s0
	s_clause 0x1
	global_load_d16_b16 v2, v[12:13], off
	global_load_d16_b16 v3, v[14:15], off
; %bb.5:                                ;   in Loop: Header=BB31_3 Depth=1
	s_or_b32 exec_lo, exec_lo, s27
	v_add_nc_u32_e32 v0, 16, v4
	s_delay_alu instid0(VALU_DEP_1) | instskip(NEXT) | instid1(VALU_DEP_1)
	v_cmp_gt_u32_e64 s0, s5, v0
	s_and_b32 s27, vcc_lo, s0
	s_delay_alu instid0(SALU_CYCLE_1)
	s_and_saveexec_b32 s0, s27
; %bb.6:                                ;   in Loop: Header=BB31_3 Depth=1
	v_add_co_u32 v4, vcc_lo, s18, v5
	v_add_co_ci_u32_e32 v5, vcc_lo, s19, v6, vcc_lo
	s_delay_alu instid0(VALU_DEP_2) | instskip(NEXT) | instid1(VALU_DEP_2)
	v_add_co_u32 v12, vcc_lo, v4, s12
	v_add_co_ci_u32_e32 v13, vcc_lo, s13, v5, vcc_lo
	s_clause 0x1
	global_load_d16_hi_b16 v2, v[4:5], off offset:32
	global_load_d16_hi_b16 v3, v[12:13], off offset:32
; %bb.7:                                ;   in Loop: Header=BB31_3 Depth=1
	s_or_b32 exec_lo, exec_lo, s0
	v_add3_u32 v0, s26, s22, v8
	v_lshl_or_b32 v12, s25, 4, v7
	v_mov_b32_e32 v13, v1
	s_waitcnt vmcnt(0)
	v_perm_b32 v6, v2, v3, 0x1000504
	v_mad_u64_u32 v[4:5], null, s3, s2, v[0:1]
	v_cmp_gt_u32_e32 vcc_lo, s1, v12
	v_cmp_gt_u32_e64 s0, s5, v0
	s_delay_alu instid0(VALU_DEP_1) | instskip(NEXT) | instid1(VALU_DEP_3)
	s_and_b32 s0, s0, vcc_lo
	v_mad_u64_u32 v[14:15], null, v4, s1, v[12:13]
	v_perm_b32 v4, v2, v3, 0x3020706
	ds_store_b32 v10, v6
	ds_store_b32 v10, v4 offset:1088
	s_waitcnt lgkmcnt(0)
	v_mov_b32_e32 v4, v15
	s_barrier
	buffer_gl0_inv
	ds_load_b32 v6, v11 offset:1088
	v_mad_u64_u32 v[15:16], null, v5, s1, v[4:5]
	s_delay_alu instid0(VALU_DEP_1)
	v_lshlrev_b64 v[4:5], 2, v[14:15]
	s_and_saveexec_b32 s3, s0
	s_cbranch_execz .LBB31_9
; %bb.8:                                ;   in Loop: Header=BB31_3 Depth=1
	ds_load_b32 v14, v11
	v_add_co_u32 v12, s0, s16, v4
	s_delay_alu instid0(VALU_DEP_1)
	v_add_co_ci_u32_e64 v13, s0, s17, v5, s0
	s_waitcnt lgkmcnt(0)
	global_store_b32 v[12:13], v14, off
.LBB31_9:                               ;   in Loop: Header=BB31_3 Depth=1
	s_or_b32 exec_lo, exec_lo, s3
	v_add_nc_u32_e32 v0, 16, v0
	s_delay_alu instid0(VALU_DEP_1) | instskip(NEXT) | instid1(VALU_DEP_1)
	v_cmp_gt_u32_e64 s0, s5, v0
	s_and_b32 s3, s0, vcc_lo
	s_delay_alu instid0(SALU_CYCLE_1)
	s_and_saveexec_b32 s0, s3
	s_cbranch_execz .LBB31_2
; %bb.10:                               ;   in Loop: Header=BB31_3 Depth=1
	v_add_co_u32 v4, vcc_lo, s20, v4
	v_add_co_ci_u32_e32 v5, vcc_lo, s21, v5, vcc_lo
	s_waitcnt lgkmcnt(0)
	global_store_b32 v[4:5], v6, off
	s_branch .LBB31_2
.LBB31_11:
	s_nop 0
	s_sendmsg sendmsg(MSG_DEALLOC_VGPRS)
	s_endpgm
	.section	.rodata,"a",@progbits
	.p2align	6, 0x0
	.amdhsa_kernel batched_transpose_32x32_pack_2x2_ediv_1x2_half
		.amdhsa_group_segment_fixed_size 2176
		.amdhsa_private_segment_fixed_size 0
		.amdhsa_kernarg_size 48
		.amdhsa_user_sgpr_count 15
		.amdhsa_user_sgpr_dispatch_ptr 0
		.amdhsa_user_sgpr_queue_ptr 0
		.amdhsa_user_sgpr_kernarg_segment_ptr 1
		.amdhsa_user_sgpr_dispatch_id 0
		.amdhsa_user_sgpr_private_segment_size 0
		.amdhsa_wavefront_size32 1
		.amdhsa_uses_dynamic_stack 0
		.amdhsa_enable_private_segment 0
		.amdhsa_system_sgpr_workgroup_id_x 1
		.amdhsa_system_sgpr_workgroup_id_y 0
		.amdhsa_system_sgpr_workgroup_id_z 0
		.amdhsa_system_sgpr_workgroup_info 0
		.amdhsa_system_vgpr_workitem_id 0
		.amdhsa_next_free_vgpr 17
		.amdhsa_next_free_sgpr 28
		.amdhsa_reserve_vcc 1
		.amdhsa_float_round_mode_32 0
		.amdhsa_float_round_mode_16_64 0
		.amdhsa_float_denorm_mode_32 3
		.amdhsa_float_denorm_mode_16_64 3
		.amdhsa_dx10_clamp 1
		.amdhsa_ieee_mode 1
		.amdhsa_fp16_overflow 0
		.amdhsa_workgroup_processor_mode 1
		.amdhsa_memory_ordered 1
		.amdhsa_forward_progress 0
		.amdhsa_shared_vgpr_count 0
		.amdhsa_exception_fp_ieee_invalid_op 0
		.amdhsa_exception_fp_denorm_src 0
		.amdhsa_exception_fp_ieee_div_zero 0
		.amdhsa_exception_fp_ieee_overflow 0
		.amdhsa_exception_fp_ieee_underflow 0
		.amdhsa_exception_fp_ieee_inexact 0
		.amdhsa_exception_int_div_zero 0
	.end_amdhsa_kernel
	.text
.Lfunc_end31:
	.size	batched_transpose_32x32_pack_2x2_ediv_1x2_half, .Lfunc_end31-batched_transpose_32x32_pack_2x2_ediv_1x2_half
                                        ; -- End function
	.section	.AMDGPU.csdata,"",@progbits
; Kernel info:
; codeLenInByte = 732
; NumSgprs: 30
; NumVgprs: 17
; ScratchSize: 0
; MemoryBound: 0
; FloatMode: 240
; IeeeMode: 1
; LDSByteSize: 2176 bytes/workgroup (compile time only)
; SGPRBlocks: 3
; VGPRBlocks: 2
; NumSGPRsForWavesPerEU: 30
; NumVGPRsForWavesPerEU: 17
; Occupancy: 16
; WaveLimiterHint : 0
; COMPUTE_PGM_RSRC2:SCRATCH_EN: 0
; COMPUTE_PGM_RSRC2:USER_SGPR: 15
; COMPUTE_PGM_RSRC2:TRAP_HANDLER: 0
; COMPUTE_PGM_RSRC2:TGID_X_EN: 1
; COMPUTE_PGM_RSRC2:TGID_Y_EN: 0
; COMPUTE_PGM_RSRC2:TGID_Z_EN: 0
; COMPUTE_PGM_RSRC2:TIDIG_COMP_CNT: 0
	.text
	.protected	batched_transpose_32x32_pack_2x2_ediv_2x1_half ; -- Begin function batched_transpose_32x32_pack_2x2_ediv_2x1_half
	.globl	batched_transpose_32x32_pack_2x2_ediv_2x1_half
	.p2align	8
	.type	batched_transpose_32x32_pack_2x2_ediv_2x1_half,@function
batched_transpose_32x32_pack_2x2_ediv_2x1_half: ; @batched_transpose_32x32_pack_2x2_ediv_2x1_half
; %bb.0:
	s_load_b256 s[4:11], s[0:1], 0x10
	s_waitcnt lgkmcnt(0)
	s_cmp_ge_u32 s15, s7
	s_cbranch_scc1 .LBB32_11
; %bb.1:
	s_load_b128 s[16:19], s[0:1], 0x0
	v_dual_mov_b32 v3, 0 :: v_dual_and_b32 v8, 15, v0
	v_lshrrev_b32_e32 v9, 4, v0
	s_lshr_b32 s1, s5, 1
	s_mov_b32 s3, 0
	s_lshl_b32 s12, s1, 4
	s_mov_b32 s13, s3
	s_add_i32 s0, s4, 31
	v_mul_u32_u24_e32 v0, 17, v8
	v_mul_u32_u24_e32 v1, 17, v9
	v_lshlrev_b32_e32 v2, 1, v9
	s_lshl_b64 s[12:13], s[12:13], 2
	s_add_i32 s23, s5, 31
	s_lshr_b32 s20, s0, 5
	v_add_lshl_u32 v10, v0, v9, 2
	v_add_lshl_u32 v11, v1, v8, 2
	v_lshl_or_b32 v0, s15, 5, v2
	v_lshl_or_b32 v1, s15, 4, v8
	s_mov_b32 s2, s4
	s_waitcnt lgkmcnt(0)
	s_add_u32 s21, s18, s12
	s_addc_u32 s22, s19, s13
	s_and_b32 s0, s23, 0xffffffe0
	s_lshr_b32 s12, s23, 1
	s_sub_i32 s23, 0, s0
	s_and_b32 s0, s12, 0x7ffffff0
	s_mov_b32 s14, s5
	s_lshl_b32 s24, s6, 5
	s_sub_i32 s25, 0, s0
	s_lshl_b32 s26, s6, 4
	s_lshl_b64 s[12:13], s[2:3], 1
                                        ; implicit-def: $vgpr4_vgpr5
	s_branch .LBB32_3
.LBB32_2:                               ;   in Loop: Header=BB32_3 Depth=1
	s_or_b32 exec_lo, exec_lo, s0
	v_add_nc_u32_e32 v0, s24, v0
	v_add_nc_u32_e32 v1, s26, v1
	s_add_i32 s15, s15, s6
	s_delay_alu instid0(SALU_CYCLE_1)
	s_cmp_lt_u32 s15, s7
	s_cbranch_scc0 .LBB32_11
.LBB32_3:                               ; =>This Inner Loop Header: Depth=1
	s_mul_hi_u32 s0, s10, s15
	s_delay_alu instid0(SALU_CYCLE_1)
	s_add_i32 s0, s15, s0
	s_waitcnt lgkmcnt(0)
	s_waitcnt_vscnt null, 0x0
	s_barrier
	s_lshr_b32 s27, s0, s11
	buffer_gl0_inv
	s_mul_hi_u32 s0, s27, s8
	s_delay_alu instid0(SALU_CYCLE_1) | instskip(NEXT) | instid1(SALU_CYCLE_1)
	s_add_i32 s0, s27, s0
	s_lshr_b32 s3, s0, s9
	s_delay_alu instid0(SALU_CYCLE_1) | instskip(NEXT) | instid1(SALU_CYCLE_1)
	s_mul_i32 s0, s3, s20
	s_sub_i32 s0, s27, s0
	s_delay_alu instid0(SALU_CYCLE_1) | instskip(NEXT) | instid1(SALU_CYCLE_1)
	s_lshl_b32 s28, s0, 5
	v_or_b32_e32 v2, s28, v9
	s_delay_alu instid0(VALU_DEP_1) | instskip(SKIP_3) | instid1(VALU_DEP_4)
	v_mad_u64_u32 v[6:7], null, s25, s27, v[1:2]
	v_mad_u64_u32 v[12:13], null, s3, s2, v[2:3]
	v_mov_b32_e32 v7, v3
	v_cmp_gt_u32_e64 s0, s4, v2
	v_cmp_gt_u32_e32 vcc_lo, s1, v6
	s_delay_alu instid0(VALU_DEP_3) | instskip(NEXT) | instid1(VALU_DEP_3)
	v_mad_u64_u32 v[14:15], null, v12, s1, v[6:7]
	s_and_b32 s0, s0, vcc_lo
	s_delay_alu instid0(VALU_DEP_1) | instskip(NEXT) | instid1(VALU_DEP_1)
	v_mov_b32_e32 v7, v15
	v_mad_u64_u32 v[15:16], null, v13, s1, v[7:8]
	s_delay_alu instid0(VALU_DEP_1)
	v_lshlrev_b64 v[6:7], 2, v[14:15]
	s_and_saveexec_b32 s29, s0
	s_cbranch_execz .LBB32_5
; %bb.4:                                ;   in Loop: Header=BB32_3 Depth=1
	s_delay_alu instid0(VALU_DEP_1) | instskip(NEXT) | instid1(VALU_DEP_1)
	v_add_co_u32 v12, s0, s18, v6
	v_add_co_ci_u32_e64 v13, s0, s19, v7, s0
	global_load_b32 v4, v[12:13], off
.LBB32_5:                               ;   in Loop: Header=BB32_3 Depth=1
	s_or_b32 exec_lo, exec_lo, s29
	v_add_nc_u32_e32 v2, 16, v2
	s_delay_alu instid0(VALU_DEP_1) | instskip(NEXT) | instid1(VALU_DEP_1)
	v_cmp_gt_u32_e64 s0, s4, v2
	s_and_b32 s29, s0, vcc_lo
	s_delay_alu instid0(SALU_CYCLE_1)
	s_and_saveexec_b32 s0, s29
	s_cbranch_execz .LBB32_7
; %bb.6:                                ;   in Loop: Header=BB32_3 Depth=1
	v_add_co_u32 v5, vcc_lo, s21, v6
	v_add_co_ci_u32_e32 v6, vcc_lo, s22, v7, vcc_lo
	global_load_b32 v5, v[5:6], off
.LBB32_7:                               ;   in Loop: Header=BB32_3 Depth=1
	s_or_b32 exec_lo, exec_lo, s0
	v_mad_u64_u32 v[6:7], null, s23, s27, v[0:1]
	s_waitcnt vmcnt(0)
	v_dual_mov_b32 v7, v3 :: v_dual_and_b32 v12, 0xffff, v4
	v_or_b32_e32 v2, s28, v8
	s_delay_alu instid0(VALU_DEP_2) | instskip(NEXT) | instid1(VALU_DEP_3)
	v_lshl_or_b32 v12, v5, 16, v12
	v_mad_u64_u32 v[13:14], null, s3, s14, v[6:7]
	v_lshrrev_b32_e32 v7, 16, v4
	s_delay_alu instid0(VALU_DEP_4) | instskip(SKIP_1) | instid1(VALU_DEP_3)
	v_cmp_gt_u32_e64 s0, s4, v2
	v_cmp_gt_u32_e32 vcc_lo, s5, v6
	v_and_or_b32 v7, 0xffff0000, v5, v7
	v_mad_u64_u32 v[15:16], null, v13, s2, v[2:3]
	ds_store_b32 v10, v12
	ds_store_b32 v10, v7 offset:1088
	s_waitcnt lgkmcnt(0)
	s_barrier
	buffer_gl0_inv
	ds_load_b32 v12, v11
	ds_load_b32 v13, v11 offset:1088
	v_mov_b32_e32 v7, v16
	s_and_b32 s0, s0, vcc_lo
	s_delay_alu instid0(VALU_DEP_1) | instskip(NEXT) | instid1(VALU_DEP_1)
	v_mad_u64_u32 v[16:17], null, v14, s2, v[7:8]
	v_lshlrev_b64 v[6:7], 1, v[15:16]
	s_and_saveexec_b32 s3, s0
	s_cbranch_execz .LBB32_9
; %bb.8:                                ;   in Loop: Header=BB32_3 Depth=1
	s_delay_alu instid0(VALU_DEP_1) | instskip(NEXT) | instid1(VALU_DEP_1)
	v_add_co_u32 v14, s0, s16, v6
	v_add_co_ci_u32_e64 v15, s0, s17, v7, s0
	s_delay_alu instid0(VALU_DEP_2) | instskip(NEXT) | instid1(VALU_DEP_1)
	v_add_co_u32 v16, s0, v14, s12
	v_add_co_ci_u32_e64 v17, s0, s13, v15, s0
	s_waitcnt lgkmcnt(1)
	global_store_b16 v[14:15], v12, off
	s_waitcnt lgkmcnt(0)
	global_store_b16 v[16:17], v13, off
.LBB32_9:                               ;   in Loop: Header=BB32_3 Depth=1
	s_or_b32 exec_lo, exec_lo, s3
	v_or_b32_e32 v2, 16, v2
	s_delay_alu instid0(VALU_DEP_1) | instskip(NEXT) | instid1(VALU_DEP_1)
	v_cmp_gt_u32_e64 s0, s4, v2
	s_and_b32 s3, s0, vcc_lo
	s_delay_alu instid0(SALU_CYCLE_1)
	s_and_saveexec_b32 s0, s3
	s_cbranch_execz .LBB32_2
; %bb.10:                               ;   in Loop: Header=BB32_3 Depth=1
	v_add_co_u32 v6, vcc_lo, s16, v6
	v_add_co_ci_u32_e32 v7, vcc_lo, s17, v7, vcc_lo
	s_delay_alu instid0(VALU_DEP_2) | instskip(NEXT) | instid1(VALU_DEP_2)
	v_add_co_u32 v14, vcc_lo, v6, s12
	v_add_co_ci_u32_e32 v15, vcc_lo, s13, v7, vcc_lo
	s_waitcnt lgkmcnt(1)
	global_store_d16_hi_b16 v[6:7], v12, off offset:32
	s_waitcnt lgkmcnt(0)
	global_store_d16_hi_b16 v[14:15], v13, off offset:32
	s_branch .LBB32_2
.LBB32_11:
	s_nop 0
	s_sendmsg sendmsg(MSG_DEALLOC_VGPRS)
	s_endpgm
	.section	.rodata,"a",@progbits
	.p2align	6, 0x0
	.amdhsa_kernel batched_transpose_32x32_pack_2x2_ediv_2x1_half
		.amdhsa_group_segment_fixed_size 2176
		.amdhsa_private_segment_fixed_size 0
		.amdhsa_kernarg_size 48
		.amdhsa_user_sgpr_count 15
		.amdhsa_user_sgpr_dispatch_ptr 0
		.amdhsa_user_sgpr_queue_ptr 0
		.amdhsa_user_sgpr_kernarg_segment_ptr 1
		.amdhsa_user_sgpr_dispatch_id 0
		.amdhsa_user_sgpr_private_segment_size 0
		.amdhsa_wavefront_size32 1
		.amdhsa_uses_dynamic_stack 0
		.amdhsa_enable_private_segment 0
		.amdhsa_system_sgpr_workgroup_id_x 1
		.amdhsa_system_sgpr_workgroup_id_y 0
		.amdhsa_system_sgpr_workgroup_id_z 0
		.amdhsa_system_sgpr_workgroup_info 0
		.amdhsa_system_vgpr_workitem_id 0
		.amdhsa_next_free_vgpr 18
		.amdhsa_next_free_sgpr 30
		.amdhsa_reserve_vcc 1
		.amdhsa_float_round_mode_32 0
		.amdhsa_float_round_mode_16_64 0
		.amdhsa_float_denorm_mode_32 3
		.amdhsa_float_denorm_mode_16_64 3
		.amdhsa_dx10_clamp 1
		.amdhsa_ieee_mode 1
		.amdhsa_fp16_overflow 0
		.amdhsa_workgroup_processor_mode 1
		.amdhsa_memory_ordered 1
		.amdhsa_forward_progress 0
		.amdhsa_shared_vgpr_count 0
		.amdhsa_exception_fp_ieee_invalid_op 0
		.amdhsa_exception_fp_denorm_src 0
		.amdhsa_exception_fp_ieee_div_zero 0
		.amdhsa_exception_fp_ieee_overflow 0
		.amdhsa_exception_fp_ieee_underflow 0
		.amdhsa_exception_fp_ieee_inexact 0
		.amdhsa_exception_int_div_zero 0
	.end_amdhsa_kernel
	.text
.Lfunc_end32:
	.size	batched_transpose_32x32_pack_2x2_ediv_2x1_half, .Lfunc_end32-batched_transpose_32x32_pack_2x2_ediv_2x1_half
                                        ; -- End function
	.section	.AMDGPU.csdata,"",@progbits
; Kernel info:
; codeLenInByte = 800
; NumSgprs: 32
; NumVgprs: 18
; ScratchSize: 0
; MemoryBound: 0
; FloatMode: 240
; IeeeMode: 1
; LDSByteSize: 2176 bytes/workgroup (compile time only)
; SGPRBlocks: 3
; VGPRBlocks: 2
; NumSGPRsForWavesPerEU: 32
; NumVGPRsForWavesPerEU: 18
; Occupancy: 16
; WaveLimiterHint : 0
; COMPUTE_PGM_RSRC2:SCRATCH_EN: 0
; COMPUTE_PGM_RSRC2:USER_SGPR: 15
; COMPUTE_PGM_RSRC2:TRAP_HANDLER: 0
; COMPUTE_PGM_RSRC2:TGID_X_EN: 1
; COMPUTE_PGM_RSRC2:TGID_Y_EN: 0
; COMPUTE_PGM_RSRC2:TGID_Z_EN: 0
; COMPUTE_PGM_RSRC2:TIDIG_COMP_CNT: 0
	.text
	.protected	batched_transpose_32x32_pack_2x2_ediv_1x1_half ; -- Begin function batched_transpose_32x32_pack_2x2_ediv_1x1_half
	.globl	batched_transpose_32x32_pack_2x2_ediv_1x1_half
	.p2align	8
	.type	batched_transpose_32x32_pack_2x2_ediv_1x1_half,@function
batched_transpose_32x32_pack_2x2_ediv_1x1_half: ; @batched_transpose_32x32_pack_2x2_ediv_1x1_half
; %bb.0:
	s_load_b256 s[4:11], s[0:1], 0x10
	s_waitcnt lgkmcnt(0)
	s_cmp_ge_u32 s15, s7
	s_cbranch_scc1 .LBB33_19
; %bb.1:
	s_load_b128 s[16:19], s[0:1], 0x0
	s_mov_b32 s1, 0
	s_lshl_b32 s0, s5, 4
	s_add_i32 s3, s4, 31
	s_lshl_b64 s[12:13], s[0:1], 1
	s_add_i32 s29, s5, 31
	s_lshr_b32 s3, s3, 5
	v_dual_mov_b32 v1, 0 :: v_dual_and_b32 v8, 15, v0
	v_lshrrev_b32_e32 v9, 4, v0
	s_mov_b32 s2, s5
	s_delay_alu instid0(VALU_DEP_2) | instskip(NEXT) | instid1(VALU_DEP_2)
	v_mul_u32_u24_e32 v0, 17, v8
	v_mul_u32_u24_e32 v2, 17, v9
	s_delay_alu instid0(VALU_DEP_2) | instskip(NEXT) | instid1(VALU_DEP_2)
	v_add_lshl_u32 v10, v0, v9, 2
	v_add_lshl_u32 v11, v2, v8, 2
	s_waitcnt lgkmcnt(0)
	s_add_u32 s12, s18, s12
	s_addc_u32 s13, s19, s13
	s_lshl_b32 s0, s4, 4
                                        ; implicit-def: $vgpr2_vgpr3
	s_delay_alu instid0(SALU_CYCLE_1) | instskip(NEXT) | instid1(SALU_CYCLE_1)
	s_lshl_b64 s[0:1], s[0:1], 1
	s_add_u32 s14, s16, s0
	s_addc_u32 s20, s17, s1
	s_add_u32 s21, s18, 32
	s_addc_u32 s22, s19, 0
	;; [unrolled: 2-line block ×5, first 2 shown]
	s_and_b32 s0, s29, 0xffffffe0
	s_lshl_b32 s29, s15, 5
	s_sub_i32 s30, 0, s0
	s_lshl_b32 s31, s6, 5
	s_branch .LBB33_3
.LBB33_2:                               ;   in Loop: Header=BB33_3 Depth=1
	s_or_b32 exec_lo, exec_lo, s0
	s_add_i32 s15, s15, s6
	s_add_i32 s29, s29, s31
	s_cmp_lt_u32 s15, s7
	s_cbranch_scc0 .LBB33_19
.LBB33_3:                               ; =>This Inner Loop Header: Depth=1
	s_mul_hi_u32 s0, s10, s15
	s_waitcnt lgkmcnt(0)
	v_mov_b32_e32 v7, v1
	s_add_i32 s0, s15, s0
	s_delay_alu instid0(SALU_CYCLE_1)
	s_lshr_b32 s0, s0, s11
	s_waitcnt_vscnt null, 0x0
	s_barrier
	s_mul_hi_u32 s1, s0, s8
	s_mul_i32 s35, s30, s0
	s_add_i32 s1, s0, s1
	v_add3_u32 v6, s35, s29, v8
	s_lshr_b32 s33, s1, s9
	buffer_gl0_inv
	s_mul_i32 s1, s33, s3
	v_cmp_gt_u32_e32 vcc_lo, s5, v6
	s_sub_i32 s1, s0, s1
	s_delay_alu instid0(SALU_CYCLE_1) | instskip(NEXT) | instid1(SALU_CYCLE_1)
	s_lshl_b32 s34, s1, 5
	v_or_b32_e32 v0, s34, v9
	s_delay_alu instid0(VALU_DEP_1) | instskip(SKIP_1) | instid1(VALU_DEP_1)
	v_mad_u64_u32 v[4:5], null, s33, s4, v[0:1]
	v_cmp_gt_u32_e64 s1, s4, v0
	s_and_b32 s0, s1, vcc_lo
	s_delay_alu instid0(VALU_DEP_2) | instskip(NEXT) | instid1(VALU_DEP_1)
	v_mad_u64_u32 v[12:13], null, v4, s2, v[6:7]
	v_mov_b32_e32 v4, v13
	s_delay_alu instid0(VALU_DEP_1) | instskip(NEXT) | instid1(VALU_DEP_1)
	v_mad_u64_u32 v[13:14], null, v5, s2, v[4:5]
	v_lshlrev_b64 v[4:5], 1, v[12:13]
	s_and_saveexec_b32 s36, s0
	s_cbranch_execz .LBB33_5
; %bb.4:                                ;   in Loop: Header=BB33_3 Depth=1
	s_delay_alu instid0(VALU_DEP_1) | instskip(NEXT) | instid1(VALU_DEP_1)
	v_add_co_u32 v12, s0, s18, v4
	v_add_co_ci_u32_e64 v13, s0, s19, v5, s0
	global_load_d16_b16 v2, v[12:13], off
.LBB33_5:                               ;   in Loop: Header=BB33_3 Depth=1
	s_or_b32 exec_lo, exec_lo, s36
	v_add_nc_u32_e32 v6, 16, v6
	s_delay_alu instid0(VALU_DEP_1) | instskip(NEXT) | instid1(VALU_DEP_1)
	v_cmp_gt_u32_e64 s0, s5, v6
	s_and_b32 s1, s1, s0
	s_delay_alu instid0(SALU_CYCLE_1)
	s_and_saveexec_b32 s36, s1
	s_cbranch_execz .LBB33_7
; %bb.6:                                ;   in Loop: Header=BB33_3 Depth=1
	v_add_co_u32 v6, s1, s21, v4
	s_delay_alu instid0(VALU_DEP_1)
	v_add_co_ci_u32_e64 v7, s1, s22, v5, s1
	global_load_d16_hi_b16 v2, v[6:7], off
.LBB33_7:                               ;   in Loop: Header=BB33_3 Depth=1
	s_or_b32 exec_lo, exec_lo, s36
	v_add_nc_u32_e32 v0, 16, v0
	s_delay_alu instid0(VALU_DEP_1) | instskip(NEXT) | instid1(VALU_DEP_1)
	v_cmp_gt_u32_e64 s1, s4, v0
	s_and_b32 s37, s1, vcc_lo
	s_delay_alu instid0(SALU_CYCLE_1)
	s_and_saveexec_b32 s36, s37
	s_cbranch_execz .LBB33_9
; %bb.8:                                ;   in Loop: Header=BB33_3 Depth=1
	v_add_co_u32 v6, vcc_lo, s12, v4
	v_add_co_ci_u32_e32 v7, vcc_lo, s13, v5, vcc_lo
	global_load_d16_b16 v3, v[6:7], off
.LBB33_9:                               ;   in Loop: Header=BB33_3 Depth=1
	s_or_b32 exec_lo, exec_lo, s36
	s_and_b32 s1, s1, s0
	s_delay_alu instid0(SALU_CYCLE_1)
	s_and_saveexec_b32 s0, s1
	s_cbranch_execz .LBB33_11
; %bb.10:                               ;   in Loop: Header=BB33_3 Depth=1
	v_add_co_u32 v4, vcc_lo, s23, v4
	v_add_co_ci_u32_e32 v5, vcc_lo, s24, v5, vcc_lo
	global_load_d16_hi_b16 v3, v[4:5], off
.LBB33_11:                              ;   in Loop: Header=BB33_3 Depth=1
	s_or_b32 exec_lo, exec_lo, s0
	v_add3_u32 v0, s35, s29, v9
	v_or_b32_e32 v6, s34, v8
	v_mov_b32_e32 v7, v1
	s_waitcnt vmcnt(0)
	v_perm_b32 v12, v2, v3, 0x1000504
	v_perm_b32 v15, v2, v3, 0x3020706
	v_mad_u64_u32 v[4:5], null, s33, s2, v[0:1]
	ds_store_b32 v10, v12
	ds_store_b32 v10, v15 offset:1088
	s_waitcnt lgkmcnt(0)
	s_barrier
	buffer_gl0_inv
	v_cmp_gt_u32_e32 vcc_lo, s4, v6
	v_mad_u64_u32 v[13:14], null, v4, s4, v[6:7]
	ds_load_b32 v12, v11
	ds_load_b32 v7, v11 offset:1088
	v_cmp_gt_u32_e64 s1, s5, v0
	v_mov_b32_e32 v4, v14
	s_delay_alu instid0(VALU_DEP_2) | instskip(NEXT) | instid1(VALU_DEP_1)
	s_and_b32 s0, s1, vcc_lo
	v_mad_u64_u32 v[14:15], null, v5, s4, v[4:5]
	s_delay_alu instid0(VALU_DEP_1)
	v_lshlrev_b64 v[4:5], 1, v[13:14]
	s_and_saveexec_b32 s33, s0
	s_cbranch_execz .LBB33_13
; %bb.12:                               ;   in Loop: Header=BB33_3 Depth=1
	s_delay_alu instid0(VALU_DEP_1) | instskip(NEXT) | instid1(VALU_DEP_1)
	v_add_co_u32 v13, s0, s16, v4
	v_add_co_ci_u32_e64 v14, s0, s17, v5, s0
	s_waitcnt lgkmcnt(1)
	global_store_b16 v[13:14], v12, off
.LBB33_13:                              ;   in Loop: Header=BB33_3 Depth=1
	s_or_b32 exec_lo, exec_lo, s33
	v_or_b32_e32 v6, 16, v6
	s_delay_alu instid0(VALU_DEP_1) | instskip(NEXT) | instid1(VALU_DEP_1)
	v_cmp_gt_u32_e64 s0, s4, v6
	s_and_b32 s1, s1, s0
	s_delay_alu instid0(SALU_CYCLE_1)
	s_and_saveexec_b32 s33, s1
	s_cbranch_execz .LBB33_15
; %bb.14:                               ;   in Loop: Header=BB33_3 Depth=1
	v_add_co_u32 v13, s1, s25, v4
	s_delay_alu instid0(VALU_DEP_1)
	v_add_co_ci_u32_e64 v14, s1, s26, v5, s1
	s_waitcnt lgkmcnt(1)
	global_store_d16_hi_b16 v[13:14], v12, off
.LBB33_15:                              ;   in Loop: Header=BB33_3 Depth=1
	s_or_b32 exec_lo, exec_lo, s33
	v_add_nc_u32_e32 v0, 16, v0
	s_delay_alu instid0(VALU_DEP_1) | instskip(NEXT) | instid1(VALU_DEP_1)
	v_cmp_gt_u32_e64 s1, s5, v0
	s_and_b32 s34, s1, vcc_lo
	s_delay_alu instid0(SALU_CYCLE_1)
	s_and_saveexec_b32 s33, s34
	s_cbranch_execz .LBB33_17
; %bb.16:                               ;   in Loop: Header=BB33_3 Depth=1
	s_waitcnt lgkmcnt(1)
	v_add_co_u32 v12, vcc_lo, s14, v4
	v_add_co_ci_u32_e32 v13, vcc_lo, s20, v5, vcc_lo
	s_waitcnt lgkmcnt(0)
	global_store_b16 v[12:13], v7, off
.LBB33_17:                              ;   in Loop: Header=BB33_3 Depth=1
	s_or_b32 exec_lo, exec_lo, s33
	s_and_b32 s1, s1, s0
	s_delay_alu instid0(SALU_CYCLE_1)
	s_and_saveexec_b32 s0, s1
	s_cbranch_execz .LBB33_2
; %bb.18:                               ;   in Loop: Header=BB33_3 Depth=1
	v_add_co_u32 v4, vcc_lo, s27, v4
	v_add_co_ci_u32_e32 v5, vcc_lo, s28, v5, vcc_lo
	s_waitcnt lgkmcnt(0)
	global_store_d16_hi_b16 v[4:5], v7, off
	s_branch .LBB33_2
.LBB33_19:
	s_nop 0
	s_sendmsg sendmsg(MSG_DEALLOC_VGPRS)
	s_endpgm
	.section	.rodata,"a",@progbits
	.p2align	6, 0x0
	.amdhsa_kernel batched_transpose_32x32_pack_2x2_ediv_1x1_half
		.amdhsa_group_segment_fixed_size 2176
		.amdhsa_private_segment_fixed_size 0
		.amdhsa_kernarg_size 48
		.amdhsa_user_sgpr_count 15
		.amdhsa_user_sgpr_dispatch_ptr 0
		.amdhsa_user_sgpr_queue_ptr 0
		.amdhsa_user_sgpr_kernarg_segment_ptr 1
		.amdhsa_user_sgpr_dispatch_id 0
		.amdhsa_user_sgpr_private_segment_size 0
		.amdhsa_wavefront_size32 1
		.amdhsa_uses_dynamic_stack 0
		.amdhsa_enable_private_segment 0
		.amdhsa_system_sgpr_workgroup_id_x 1
		.amdhsa_system_sgpr_workgroup_id_y 0
		.amdhsa_system_sgpr_workgroup_id_z 0
		.amdhsa_system_sgpr_workgroup_info 0
		.amdhsa_system_vgpr_workitem_id 0
		.amdhsa_next_free_vgpr 16
		.amdhsa_next_free_sgpr 38
		.amdhsa_reserve_vcc 1
		.amdhsa_float_round_mode_32 0
		.amdhsa_float_round_mode_16_64 0
		.amdhsa_float_denorm_mode_32 3
		.amdhsa_float_denorm_mode_16_64 3
		.amdhsa_dx10_clamp 1
		.amdhsa_ieee_mode 1
		.amdhsa_fp16_overflow 0
		.amdhsa_workgroup_processor_mode 1
		.amdhsa_memory_ordered 1
		.amdhsa_forward_progress 0
		.amdhsa_shared_vgpr_count 0
		.amdhsa_exception_fp_ieee_invalid_op 0
		.amdhsa_exception_fp_denorm_src 0
		.amdhsa_exception_fp_ieee_div_zero 0
		.amdhsa_exception_fp_ieee_overflow 0
		.amdhsa_exception_fp_ieee_underflow 0
		.amdhsa_exception_fp_ieee_inexact 0
		.amdhsa_exception_int_div_zero 0
	.end_amdhsa_kernel
	.text
.Lfunc_end33:
	.size	batched_transpose_32x32_pack_2x2_ediv_1x1_half, .Lfunc_end33-batched_transpose_32x32_pack_2x2_ediv_1x1_half
                                        ; -- End function
	.section	.AMDGPU.csdata,"",@progbits
; Kernel info:
; codeLenInByte = 940
; NumSgprs: 40
; NumVgprs: 16
; ScratchSize: 0
; MemoryBound: 0
; FloatMode: 240
; IeeeMode: 1
; LDSByteSize: 2176 bytes/workgroup (compile time only)
; SGPRBlocks: 4
; VGPRBlocks: 1
; NumSGPRsForWavesPerEU: 40
; NumVGPRsForWavesPerEU: 16
; Occupancy: 16
; WaveLimiterHint : 0
; COMPUTE_PGM_RSRC2:SCRATCH_EN: 0
; COMPUTE_PGM_RSRC2:USER_SGPR: 15
; COMPUTE_PGM_RSRC2:TRAP_HANDLER: 0
; COMPUTE_PGM_RSRC2:TGID_X_EN: 1
; COMPUTE_PGM_RSRC2:TGID_Y_EN: 0
; COMPUTE_PGM_RSRC2:TGID_Z_EN: 0
; COMPUTE_PGM_RSRC2:TIDIG_COMP_CNT: 0
	.text
	.protected	batched_transpose_64x32_pack_4x2_ediv_4x2_half ; -- Begin function batched_transpose_64x32_pack_4x2_ediv_4x2_half
	.globl	batched_transpose_64x32_pack_4x2_ediv_4x2_half
	.p2align	8
	.type	batched_transpose_64x32_pack_4x2_ediv_4x2_half,@function
batched_transpose_64x32_pack_4x2_ediv_4x2_half: ; @batched_transpose_64x32_pack_4x2_ediv_4x2_half
; %bb.0:
	s_load_b256 s[4:11], s[0:1], 0x10
	s_waitcnt lgkmcnt(0)
	s_cmp_ge_u32 s15, s7
	s_cbranch_scc1 .LBB34_7
; %bb.1:
	v_and_b32_e32 v5, 15, v0
	v_lshrrev_b32_e32 v0, 4, v0
	s_load_b128 s[16:19], s[0:1], 0x0
	s_add_i32 s0, s4, 31
	s_lshr_b32 s2, s4, 1
	s_lshr_b32 s1, s0, 5
	v_mul_u32_u24_e32 v2, 17, v0
	v_lshlrev_b32_e32 v6, 1, v0
	s_add_i32 s0, s5, 63
	s_mov_b32 s13, 0
	s_and_b32 s20, s0, 0xffffffc0
	v_add_lshl_u32 v8, v2, v5, 2
	v_mov_b32_e32 v2, 0
	v_mul_u32_u24_e32 v1, 17, v5
	s_lshr_b32 s0, s0, 2
	v_lshl_or_b32 v9, s15, 4, v5
	s_lshr_b32 s12, s5, 2
	s_mov_b32 s3, s13
	v_add_lshl_u32 v7, v1, v0, 2
	v_lshlrev_b32_e32 v0, 2, v0
	s_and_b32 s24, s4, -2
	s_mov_b32 s25, s13
	s_mul_i32 s26, s2, 3
	s_mov_b32 s27, s13
	v_lshl_or_b32 v0, s15, 6, v0
	s_and_b32 s0, s0, 0x3ffffff0
	s_mov_b32 s14, s5
	s_sub_i32 s28, 0, s20
	s_lshl_b32 s29, s6, 6
	s_sub_i32 s30, 0, s0
	s_lshl_b32 s31, s6, 4
	s_lshl_b64 s[20:21], s[12:13], 3
	s_lshl_b64 s[22:23], s[2:3], 2
	;; [unrolled: 1-line block ×4, first 2 shown]
	s_branch .LBB34_3
.LBB34_2:                               ;   in Loop: Header=BB34_3 Depth=1
	s_or_b32 exec_lo, exec_lo, s0
	v_add_nc_u32_e32 v0, s29, v0
	v_add_nc_u32_e32 v9, s31, v9
	s_add_i32 s15, s15, s6
	s_delay_alu instid0(SALU_CYCLE_1)
	s_cmp_lt_u32 s15, s7
	s_cbranch_scc0 .LBB34_7
.LBB34_3:                               ; =>This Inner Loop Header: Depth=1
	s_mul_hi_u32 s0, s10, s15
	s_waitcnt lgkmcnt(0)
	s_add_i32 s0, s15, s0
	s_waitcnt_vscnt null, 0x0
	s_barrier
	s_lshr_b32 s13, s0, s11
	buffer_gl0_inv
	s_mul_hi_u32 s0, s13, s8
	s_delay_alu instid0(SALU_CYCLE_1) | instskip(NEXT) | instid1(SALU_CYCLE_1)
	s_add_i32 s0, s13, s0
	s_lshr_b32 s3, s0, s9
	s_delay_alu instid0(SALU_CYCLE_1) | instskip(NEXT) | instid1(SALU_CYCLE_1)
	s_mul_i32 s0, s3, s1
	s_sub_i32 s33, s13, s0
	s_mul_i32 s0, s30, s13
	v_lshl_or_b32 v1, s33, 5, v6
	v_add_nc_u32_e32 v3, s0, v9
	s_delay_alu instid0(VALU_DEP_2) | instskip(NEXT) | instid1(VALU_DEP_2)
	v_cmp_gt_u32_e32 vcc_lo, s4, v1
	v_cmp_gt_u32_e64 s0, s12, v3
	s_delay_alu instid0(VALU_DEP_1) | instskip(NEXT) | instid1(SALU_CYCLE_1)
	s_and_b32 s34, vcc_lo, s0
	s_and_saveexec_b32 s0, s34
	s_cbranch_execz .LBB34_5
; %bb.4:                                ;   in Loop: Header=BB34_3 Depth=1
	v_mad_u64_u32 v[10:11], null, s3, s4, v[1:2]
	v_mov_b32_e32 v4, v2
	s_delay_alu instid0(VALU_DEP_1) | instskip(NEXT) | instid1(VALU_DEP_3)
	v_lshlrev_b64 v[3:4], 3, v[3:4]
	v_mad_u64_u32 v[12:13], null, v10, s12, 0
	s_delay_alu instid0(VALU_DEP_1) | instskip(NEXT) | instid1(VALU_DEP_1)
	v_mov_b32_e32 v1, v13
	v_mad_u64_u32 v[13:14], null, v11, s12, v[1:2]
	s_delay_alu instid0(VALU_DEP_1) | instskip(NEXT) | instid1(VALU_DEP_1)
	v_lshlrev_b64 v[10:11], 3, v[12:13]
	v_add_co_u32 v1, vcc_lo, s18, v10
	s_delay_alu instid0(VALU_DEP_2) | instskip(NEXT) | instid1(VALU_DEP_2)
	v_add_co_ci_u32_e32 v10, vcc_lo, s19, v11, vcc_lo
	v_add_co_u32 v3, vcc_lo, v1, v3
	s_delay_alu instid0(VALU_DEP_2) | instskip(NEXT) | instid1(VALU_DEP_2)
	v_add_co_ci_u32_e32 v4, vcc_lo, v10, v4, vcc_lo
	v_add_co_u32 v10, vcc_lo, v3, s20
	s_delay_alu instid0(VALU_DEP_2)
	v_add_co_ci_u32_e32 v11, vcc_lo, s21, v4, vcc_lo
	s_clause 0x1
	global_load_b64 v[3:4], v[3:4], off
	global_load_b64 v[10:11], v[10:11], off
	s_waitcnt vmcnt(1)
	v_and_b32_e32 v1, 0xffff, v3
	v_lshrrev_b32_e32 v3, 16, v3
	v_and_b32_e32 v12, 0xffff, v4
	s_waitcnt vmcnt(0)
	v_perm_b32 v4, v4, v11, 0x3020706
	v_lshl_or_b32 v1, v10, 16, v1
	v_and_or_b32 v3, 0xffff0000, v10, v3
	v_lshl_or_b32 v10, v11, 16, v12
	ds_store_b32 v7, v1
	ds_store_b32 v7, v3 offset:1088
	ds_store_b32 v7, v10 offset:2176
	;; [unrolled: 1-line block ×3, first 2 shown]
.LBB34_5:                               ;   in Loop: Header=BB34_3 Depth=1
	s_or_b32 exec_lo, exec_lo, s0
	v_mad_u64_u32 v[3:4], null, s28, s13, v[0:1]
	v_lshl_or_b32 v1, s33, 4, v5
	s_waitcnt lgkmcnt(0)
	s_barrier
	buffer_gl0_inv
	v_cmp_gt_u32_e32 vcc_lo, s2, v1
	v_cmp_gt_u32_e64 s0, s5, v3
	s_delay_alu instid0(VALU_DEP_1) | instskip(NEXT) | instid1(SALU_CYCLE_1)
	s_and_b32 s13, vcc_lo, s0
	s_and_saveexec_b32 s0, s13
	s_cbranch_execz .LBB34_2
; %bb.6:                                ;   in Loop: Header=BB34_3 Depth=1
	v_mov_b32_e32 v4, v2
	ds_load_b32 v16, v8
	ds_load_b32 v17, v8 offset:1088
	ds_load_b32 v18, v8 offset:2176
	;; [unrolled: 1-line block ×3, first 2 shown]
	v_mad_u64_u32 v[10:11], null, s3, s14, v[3:4]
	s_delay_alu instid0(VALU_DEP_1) | instskip(NEXT) | instid1(VALU_DEP_1)
	v_mad_u64_u32 v[3:4], null, v10, s2, 0
	v_mad_u64_u32 v[12:13], null, v11, s2, v[4:5]
	v_lshlrev_b64 v[10:11], 2, v[1:2]
	s_delay_alu instid0(VALU_DEP_2) | instskip(NEXT) | instid1(VALU_DEP_1)
	v_mov_b32_e32 v4, v12
	v_lshlrev_b64 v[3:4], 2, v[3:4]
	s_delay_alu instid0(VALU_DEP_1) | instskip(NEXT) | instid1(VALU_DEP_2)
	v_add_co_u32 v1, vcc_lo, s16, v3
	v_add_co_ci_u32_e32 v4, vcc_lo, s17, v4, vcc_lo
	s_delay_alu instid0(VALU_DEP_2) | instskip(NEXT) | instid1(VALU_DEP_2)
	v_add_co_u32 v3, vcc_lo, v1, v10
	v_add_co_ci_u32_e32 v4, vcc_lo, v4, v11, vcc_lo
	s_delay_alu instid0(VALU_DEP_2) | instskip(NEXT) | instid1(VALU_DEP_2)
	v_add_co_u32 v10, vcc_lo, v3, s22
	v_add_co_ci_u32_e32 v11, vcc_lo, s23, v4, vcc_lo
	v_add_co_u32 v12, vcc_lo, v3, s24
	v_add_co_ci_u32_e32 v13, vcc_lo, s25, v4, vcc_lo
	;; [unrolled: 2-line block ×3, first 2 shown]
	s_waitcnt lgkmcnt(3)
	global_store_b32 v[3:4], v16, off
	s_waitcnt lgkmcnt(2)
	global_store_b32 v[10:11], v17, off
	;; [unrolled: 2-line block ×4, first 2 shown]
	s_branch .LBB34_2
.LBB34_7:
	s_nop 0
	s_sendmsg sendmsg(MSG_DEALLOC_VGPRS)
	s_endpgm
	.section	.rodata,"a",@progbits
	.p2align	6, 0x0
	.amdhsa_kernel batched_transpose_64x32_pack_4x2_ediv_4x2_half
		.amdhsa_group_segment_fixed_size 4352
		.amdhsa_private_segment_fixed_size 0
		.amdhsa_kernarg_size 48
		.amdhsa_user_sgpr_count 15
		.amdhsa_user_sgpr_dispatch_ptr 0
		.amdhsa_user_sgpr_queue_ptr 0
		.amdhsa_user_sgpr_kernarg_segment_ptr 1
		.amdhsa_user_sgpr_dispatch_id 0
		.amdhsa_user_sgpr_private_segment_size 0
		.amdhsa_wavefront_size32 1
		.amdhsa_uses_dynamic_stack 0
		.amdhsa_enable_private_segment 0
		.amdhsa_system_sgpr_workgroup_id_x 1
		.amdhsa_system_sgpr_workgroup_id_y 0
		.amdhsa_system_sgpr_workgroup_id_z 0
		.amdhsa_system_sgpr_workgroup_info 0
		.amdhsa_system_vgpr_workitem_id 0
		.amdhsa_next_free_vgpr 20
		.amdhsa_next_free_sgpr 35
		.amdhsa_reserve_vcc 1
		.amdhsa_float_round_mode_32 0
		.amdhsa_float_round_mode_16_64 0
		.amdhsa_float_denorm_mode_32 3
		.amdhsa_float_denorm_mode_16_64 3
		.amdhsa_dx10_clamp 1
		.amdhsa_ieee_mode 1
		.amdhsa_fp16_overflow 0
		.amdhsa_workgroup_processor_mode 1
		.amdhsa_memory_ordered 1
		.amdhsa_forward_progress 0
		.amdhsa_shared_vgpr_count 0
		.amdhsa_exception_fp_ieee_invalid_op 0
		.amdhsa_exception_fp_denorm_src 0
		.amdhsa_exception_fp_ieee_div_zero 0
		.amdhsa_exception_fp_ieee_overflow 0
		.amdhsa_exception_fp_ieee_underflow 0
		.amdhsa_exception_fp_ieee_inexact 0
		.amdhsa_exception_int_div_zero 0
	.end_amdhsa_kernel
	.text
.Lfunc_end34:
	.size	batched_transpose_64x32_pack_4x2_ediv_4x2_half, .Lfunc_end34-batched_transpose_64x32_pack_4x2_ediv_4x2_half
                                        ; -- End function
	.section	.AMDGPU.csdata,"",@progbits
; Kernel info:
; codeLenInByte = 844
; NumSgprs: 37
; NumVgprs: 20
; ScratchSize: 0
; MemoryBound: 0
; FloatMode: 240
; IeeeMode: 1
; LDSByteSize: 4352 bytes/workgroup (compile time only)
; SGPRBlocks: 4
; VGPRBlocks: 2
; NumSGPRsForWavesPerEU: 37
; NumVGPRsForWavesPerEU: 20
; Occupancy: 16
; WaveLimiterHint : 0
; COMPUTE_PGM_RSRC2:SCRATCH_EN: 0
; COMPUTE_PGM_RSRC2:USER_SGPR: 15
; COMPUTE_PGM_RSRC2:TRAP_HANDLER: 0
; COMPUTE_PGM_RSRC2:TGID_X_EN: 1
; COMPUTE_PGM_RSRC2:TGID_Y_EN: 0
; COMPUTE_PGM_RSRC2:TGID_Z_EN: 0
; COMPUTE_PGM_RSRC2:TIDIG_COMP_CNT: 0
	.text
	.protected	batched_transpose_64x32_pack_4x2_ediv_2x2_half ; -- Begin function batched_transpose_64x32_pack_4x2_ediv_2x2_half
	.globl	batched_transpose_64x32_pack_4x2_ediv_2x2_half
	.p2align	8
	.type	batched_transpose_64x32_pack_4x2_ediv_2x2_half,@function
batched_transpose_64x32_pack_4x2_ediv_2x2_half: ; @batched_transpose_64x32_pack_4x2_ediv_2x2_half
; %bb.0:
	s_load_b256 s[4:11], s[0:1], 0x10
	s_waitcnt lgkmcnt(0)
	s_cmp_ge_u32 s15, s7
	s_cbranch_scc1 .LBB35_11
; %bb.1:
	s_load_b128 s[16:19], s[0:1], 0x0
	v_and_b32_e32 v13, 15, v0
	v_lshrrev_b32_e32 v0, 4, v0
	s_add_i32 s0, s4, 31
	s_lshr_b32 s2, s4, 1
	s_lshr_b32 s1, s0, 5
	v_mul_u32_u24_e32 v1, 17, v13
	v_mul_u32_u24_e32 v2, 17, v0
	v_dual_mov_b32 v7, 0 :: v_dual_lshlrev_b32 v14, 1, v0
	s_add_i32 s0, s5, 63
	s_mov_b32 s13, 0
	s_and_b32 s20, s0, 0xffffffc0
	s_lshr_b32 s0, s0, 1
	v_add_lshl_u32 v15, v1, v0, 4
	v_add_lshl_u32 v16, v2, v13, 4
	v_lshl_or_b32 v4, s15, 6, v14
	v_lshl_or_b32 v5, s15, 5, v13
	s_lshr_b32 s12, s5, 1
	s_mov_b32 s3, s13
	s_lshl_b32 s26, s2, 5
	s_mov_b32 s27, s13
	s_mul_i32 s24, s2, 33
	s_mov_b32 s25, s13
	s_and_b32 s0, s0, 0x7fffffe0
	s_mov_b32 s14, s5
	s_sub_i32 s28, 0, s20
	s_lshl_b32 s29, s6, 6
	s_sub_i32 s30, 0, s0
	s_lshl_b32 s31, s6, 5
	s_lshl_b64 s[20:21], s[12:13], 2
	s_lshl_b64 s[22:23], s[2:3], 2
	;; [unrolled: 1-line block ×4, first 2 shown]
                                        ; implicit-def: $vgpr0_vgpr1_vgpr2_vgpr3
	s_branch .LBB35_3
.LBB35_2:                               ;   in Loop: Header=BB35_3 Depth=1
	s_or_b32 exec_lo, exec_lo, s0
	v_add_nc_u32_e32 v4, s29, v4
	v_add_nc_u32_e32 v5, s31, v5
	s_add_i32 s15, s15, s6
	s_delay_alu instid0(SALU_CYCLE_1)
	s_cmp_lt_u32 s15, s7
	s_cbranch_scc0 .LBB35_11
.LBB35_3:                               ; =>This Inner Loop Header: Depth=1
	s_mul_hi_u32 s0, s10, s15
	s_waitcnt lgkmcnt(0)
	s_add_i32 s0, s15, s0
	s_waitcnt_vscnt null, 0x0
	s_barrier
	s_lshr_b32 s33, s0, s11
	buffer_gl0_inv
	s_mul_hi_u32 s0, s33, s8
	s_delay_alu instid0(SALU_CYCLE_1) | instskip(NEXT) | instid1(SALU_CYCLE_1)
	s_add_i32 s0, s33, s0
	s_lshr_b32 s13, s0, s9
	s_delay_alu instid0(SALU_CYCLE_1) | instskip(NEXT) | instid1(SALU_CYCLE_1)
	s_mul_i32 s0, s13, s1
	s_sub_i32 s3, s33, s0
	s_delay_alu instid0(SALU_CYCLE_1) | instskip(NEXT) | instid1(VALU_DEP_1)
	v_lshl_or_b32 v6, s3, 5, v14
	v_mad_u64_u32 v[8:9], null, s30, s33, v[5:6]
	v_mad_u64_u32 v[10:11], null, s13, s4, v[6:7]
	v_mov_b32_e32 v9, v7
	v_cmp_gt_u32_e32 vcc_lo, s4, v6
	s_delay_alu instid0(VALU_DEP_4) | instskip(NEXT) | instid1(VALU_DEP_3)
	v_cmp_gt_u32_e64 s0, s12, v8
	v_mad_u64_u32 v[17:18], null, v10, s12, v[8:9]
	s_delay_alu instid0(VALU_DEP_2) | instskip(NEXT) | instid1(VALU_DEP_1)
	s_and_b32 s0, vcc_lo, s0
	v_mov_b32_e32 v9, v18
	s_delay_alu instid0(VALU_DEP_1) | instskip(NEXT) | instid1(VALU_DEP_1)
	v_mad_u64_u32 v[18:19], null, v11, s12, v[9:10]
	v_lshlrev_b64 v[9:10], 2, v[17:18]
	s_and_saveexec_b32 s34, s0
; %bb.4:                                ;   in Loop: Header=BB35_3 Depth=1
	s_delay_alu instid0(VALU_DEP_1) | instskip(NEXT) | instid1(VALU_DEP_1)
	v_add_co_u32 v0, s0, s18, v9
	v_add_co_ci_u32_e64 v1, s0, s19, v10, s0
	s_delay_alu instid0(VALU_DEP_2) | instskip(NEXT) | instid1(VALU_DEP_1)
	v_add_co_u32 v11, s0, v0, s20
	v_add_co_ci_u32_e64 v12, s0, s21, v1, s0
	s_clause 0x1
	global_load_b32 v0, v[0:1], off
	global_load_b32 v1, v[11:12], off
; %bb.5:                                ;   in Loop: Header=BB35_3 Depth=1
	s_or_b32 exec_lo, exec_lo, s34
	v_add_nc_u32_e32 v6, 16, v8
	s_delay_alu instid0(VALU_DEP_1) | instskip(NEXT) | instid1(VALU_DEP_1)
	v_cmp_gt_u32_e64 s0, s12, v6
	s_and_b32 s34, vcc_lo, s0
	s_delay_alu instid0(SALU_CYCLE_1)
	s_and_saveexec_b32 s0, s34
; %bb.6:                                ;   in Loop: Header=BB35_3 Depth=1
	v_add_co_u32 v2, vcc_lo, s18, v9
	v_add_co_ci_u32_e32 v3, vcc_lo, s19, v10, vcc_lo
	s_delay_alu instid0(VALU_DEP_2) | instskip(NEXT) | instid1(VALU_DEP_2)
	v_add_co_u32 v8, vcc_lo, v2, s20
	v_add_co_ci_u32_e32 v9, vcc_lo, s21, v3, vcc_lo
	s_clause 0x1
	global_load_b32 v2, v[2:3], off offset:64
	global_load_b32 v3, v[8:9], off offset:64
; %bb.7:                                ;   in Loop: Header=BB35_3 Depth=1
	s_or_b32 exec_lo, exec_lo, s0
	v_mad_u64_u32 v[8:9], null, s28, s33, v[4:5]
	s_waitcnt vmcnt(1)
	v_dual_mov_b32 v9, v7 :: v_dual_and_b32 v6, 0xffff, v0
	v_lshrrev_b32_e32 v10, 16, v0
	v_and_b32_e32 v11, 0xffff, v2
	v_lshrrev_b32_e32 v12, 16, v2
	s_delay_alu instid0(VALU_DEP_4)
	v_mad_u64_u32 v[17:18], null, s13, s14, v[8:9]
	s_waitcnt vmcnt(0)
	v_lshl_or_b32 v9, v1, 16, v6
	v_lshl_or_b32 v6, s3, 4, v13
	v_and_or_b32 v10, 0xffff0000, v1, v10
	v_lshl_or_b32 v11, v3, 16, v11
	v_and_or_b32 v12, 0xffff0000, v3, v12
	v_cmp_gt_u32_e64 s0, s5, v8
	v_mad_u64_u32 v[19:20], null, v17, s2, v[6:7]
	v_cmp_gt_u32_e32 vcc_lo, s2, v6
	ds_store_b128 v15, v[9:12]
	s_waitcnt lgkmcnt(0)
	s_barrier
	buffer_gl0_inv
	ds_load_b64 v[9:10], v16 offset:8
	v_mov_b32_e32 v11, v20
	s_and_b32 s0, vcc_lo, s0
	s_delay_alu instid0(VALU_DEP_1) | instskip(NEXT) | instid1(VALU_DEP_1)
	v_mad_u64_u32 v[20:21], null, v18, s2, v[11:12]
	v_lshlrev_b64 v[11:12], 2, v[19:20]
	s_and_saveexec_b32 s3, s0
	s_cbranch_execz .LBB35_9
; %bb.8:                                ;   in Loop: Header=BB35_3 Depth=1
	ds_load_b64 v[17:18], v16
	v_add_co_u32 v19, s0, s16, v11
	s_delay_alu instid0(VALU_DEP_1) | instskip(NEXT) | instid1(VALU_DEP_2)
	v_add_co_ci_u32_e64 v20, s0, s17, v12, s0
	v_add_co_u32 v21, s0, v19, s22
	s_delay_alu instid0(VALU_DEP_1)
	v_add_co_ci_u32_e64 v22, s0, s23, v20, s0
	s_waitcnt lgkmcnt(0)
	s_clause 0x1
	global_store_b32 v[19:20], v17, off
	global_store_b32 v[21:22], v18, off
.LBB35_9:                               ;   in Loop: Header=BB35_3 Depth=1
	s_or_b32 exec_lo, exec_lo, s3
	v_add_nc_u32_e32 v6, 32, v8
	s_delay_alu instid0(VALU_DEP_1) | instskip(NEXT) | instid1(VALU_DEP_1)
	v_cmp_gt_u32_e64 s0, s5, v6
	s_and_b32 s3, vcc_lo, s0
	s_delay_alu instid0(SALU_CYCLE_1)
	s_and_saveexec_b32 s0, s3
	s_cbranch_execz .LBB35_2
; %bb.10:                               ;   in Loop: Header=BB35_3 Depth=1
	v_add_co_u32 v6, vcc_lo, s16, v11
	v_add_co_ci_u32_e32 v8, vcc_lo, s17, v12, vcc_lo
	s_delay_alu instid0(VALU_DEP_2) | instskip(NEXT) | instid1(VALU_DEP_2)
	v_add_co_u32 v11, vcc_lo, v6, s26
	v_add_co_ci_u32_e32 v12, vcc_lo, s27, v8, vcc_lo
	v_add_co_u32 v17, vcc_lo, v6, s24
	v_add_co_ci_u32_e32 v18, vcc_lo, s25, v8, vcc_lo
	s_waitcnt lgkmcnt(0)
	s_clause 0x1
	global_store_b32 v[11:12], v9, off
	global_store_b32 v[17:18], v10, off
	s_branch .LBB35_2
.LBB35_11:
	s_nop 0
	s_sendmsg sendmsg(MSG_DEALLOC_VGPRS)
	s_endpgm
	.section	.rodata,"a",@progbits
	.p2align	6, 0x0
	.amdhsa_kernel batched_transpose_64x32_pack_4x2_ediv_2x2_half
		.amdhsa_group_segment_fixed_size 4352
		.amdhsa_private_segment_fixed_size 0
		.amdhsa_kernarg_size 48
		.amdhsa_user_sgpr_count 15
		.amdhsa_user_sgpr_dispatch_ptr 0
		.amdhsa_user_sgpr_queue_ptr 0
		.amdhsa_user_sgpr_kernarg_segment_ptr 1
		.amdhsa_user_sgpr_dispatch_id 0
		.amdhsa_user_sgpr_private_segment_size 0
		.amdhsa_wavefront_size32 1
		.amdhsa_uses_dynamic_stack 0
		.amdhsa_enable_private_segment 0
		.amdhsa_system_sgpr_workgroup_id_x 1
		.amdhsa_system_sgpr_workgroup_id_y 0
		.amdhsa_system_sgpr_workgroup_id_z 0
		.amdhsa_system_sgpr_workgroup_info 0
		.amdhsa_system_vgpr_workitem_id 0
		.amdhsa_next_free_vgpr 23
		.amdhsa_next_free_sgpr 35
		.amdhsa_reserve_vcc 1
		.amdhsa_float_round_mode_32 0
		.amdhsa_float_round_mode_16_64 0
		.amdhsa_float_denorm_mode_32 3
		.amdhsa_float_denorm_mode_16_64 3
		.amdhsa_dx10_clamp 1
		.amdhsa_ieee_mode 1
		.amdhsa_fp16_overflow 0
		.amdhsa_workgroup_processor_mode 1
		.amdhsa_memory_ordered 1
		.amdhsa_forward_progress 0
		.amdhsa_shared_vgpr_count 0
		.amdhsa_exception_fp_ieee_invalid_op 0
		.amdhsa_exception_fp_denorm_src 0
		.amdhsa_exception_fp_ieee_div_zero 0
		.amdhsa_exception_fp_ieee_overflow 0
		.amdhsa_exception_fp_ieee_underflow 0
		.amdhsa_exception_fp_ieee_inexact 0
		.amdhsa_exception_int_div_zero 0
	.end_amdhsa_kernel
	.text
.Lfunc_end35:
	.size	batched_transpose_64x32_pack_4x2_ediv_2x2_half, .Lfunc_end35-batched_transpose_64x32_pack_4x2_ediv_2x2_half
                                        ; -- End function
	.section	.AMDGPU.csdata,"",@progbits
; Kernel info:
; codeLenInByte = 892
; NumSgprs: 37
; NumVgprs: 23
; ScratchSize: 0
; MemoryBound: 0
; FloatMode: 240
; IeeeMode: 1
; LDSByteSize: 4352 bytes/workgroup (compile time only)
; SGPRBlocks: 4
; VGPRBlocks: 2
; NumSGPRsForWavesPerEU: 37
; NumVGPRsForWavesPerEU: 23
; Occupancy: 16
; WaveLimiterHint : 0
; COMPUTE_PGM_RSRC2:SCRATCH_EN: 0
; COMPUTE_PGM_RSRC2:USER_SGPR: 15
; COMPUTE_PGM_RSRC2:TRAP_HANDLER: 0
; COMPUTE_PGM_RSRC2:TGID_X_EN: 1
; COMPUTE_PGM_RSRC2:TGID_Y_EN: 0
; COMPUTE_PGM_RSRC2:TGID_Z_EN: 0
; COMPUTE_PGM_RSRC2:TIDIG_COMP_CNT: 0
	.text
	.protected	batched_transpose_64x32_pack_4x2_ediv_2x1_half ; -- Begin function batched_transpose_64x32_pack_4x2_ediv_2x1_half
	.globl	batched_transpose_64x32_pack_4x2_ediv_2x1_half
	.p2align	8
	.type	batched_transpose_64x32_pack_4x2_ediv_2x1_half,@function
batched_transpose_64x32_pack_4x2_ediv_2x1_half: ; @batched_transpose_64x32_pack_4x2_ediv_2x1_half
; %bb.0:
	s_load_b256 s[4:11], s[0:1], 0x10
	s_waitcnt lgkmcnt(0)
	s_cmp_ge_u32 s15, s7
	s_cbranch_scc1 .LBB36_19
; %bb.1:
	s_load_b128 s[16:19], s[0:1], 0x0
	s_lshr_b32 s14, s5, 1
	s_add_i32 s0, s4, 31
	s_mov_b32 s3, 0
	v_dual_mov_b32 v7, 0 :: v_dual_and_b32 v14, 15, v0
	v_lshrrev_b32_e32 v15, 4, v0
	s_lshr_b32 s25, s0, 5
	s_lshl_b32 s0, s14, 4
	s_mov_b32 s1, s3
	s_add_i32 s12, s5, 63
	s_lshl_b64 s[0:1], s[0:1], 2
	v_mul_u32_u24_e32 v0, 17, v14
	v_mul_u32_u24_e32 v1, 17, v15
	v_lshlrev_b32_e32 v2, 1, v15
	v_lshl_or_b32 v5, s15, 5, v14
	s_mov_b32 s2, s4
	v_add_lshl_u32 v16, v0, v15, 4
	v_add_lshl_u32 v17, v1, v14, 4
	v_lshl_or_b32 v4, s15, 6, v2
	s_waitcnt lgkmcnt(0)
	s_add_u32 s26, s18, s0
	s_addc_u32 s27, s19, s1
	s_lshl_b32 s22, s4, 5
	s_add_u32 s28, s18, 64
	s_addc_u32 s29, s19, 0
	s_add_u32 s30, s26, 64
	s_addc_u32 s31, s27, 0
	s_and_b32 s13, s12, 0xffffffc0
	s_lshr_b32 s12, s12, 1
	s_mov_b32 s23, s3
	s_mul_i32 s0, s4, 33
	s_mov_b32 s1, s3
	s_and_b32 s12, s12, 0x7fffffe0
	s_mov_b32 s24, s5
	s_sub_i32 s33, 0, s13
	s_lshl_b32 s34, s6, 6
	s_sub_i32 s35, 0, s12
	s_lshl_b32 s36, s6, 5
	s_lshl_b64 s[12:13], s[2:3], 1
	s_lshl_b64 s[20:21], s[0:1], 1
	;; [unrolled: 1-line block ×3, first 2 shown]
                                        ; implicit-def: $vgpr0_vgpr1_vgpr2_vgpr3
	s_branch .LBB36_3
.LBB36_2:                               ;   in Loop: Header=BB36_3 Depth=1
	s_or_b32 exec_lo, exec_lo, s0
	v_add_nc_u32_e32 v4, s34, v4
	v_add_nc_u32_e32 v5, s36, v5
	s_add_i32 s15, s15, s6
	s_delay_alu instid0(SALU_CYCLE_1)
	s_cmp_lt_u32 s15, s7
	s_cbranch_scc0 .LBB36_19
.LBB36_3:                               ; =>This Inner Loop Header: Depth=1
	s_mul_hi_u32 s0, s10, s15
	s_delay_alu instid0(SALU_CYCLE_1)
	s_add_i32 s0, s15, s0
	s_waitcnt lgkmcnt(0)
	s_waitcnt_vscnt null, 0x0
	s_barrier
	s_lshr_b32 s38, s0, s11
	buffer_gl0_inv
	s_mul_hi_u32 s0, s38, s8
	s_delay_alu instid0(SALU_CYCLE_1) | instskip(NEXT) | instid1(SALU_CYCLE_1)
	s_add_i32 s0, s38, s0
	s_lshr_b32 s3, s0, s9
	s_delay_alu instid0(SALU_CYCLE_1) | instskip(NEXT) | instid1(SALU_CYCLE_1)
	s_mul_i32 s0, s3, s25
	s_sub_i32 s0, s38, s0
	s_delay_alu instid0(SALU_CYCLE_1) | instskip(NEXT) | instid1(SALU_CYCLE_1)
	s_lshl_b32 s37, s0, 5
	v_or_b32_e32 v6, s37, v15
	s_delay_alu instid0(VALU_DEP_1) | instskip(SKIP_3) | instid1(VALU_DEP_4)
	v_mad_u64_u32 v[10:11], null, s35, s38, v[5:6]
	v_mad_u64_u32 v[8:9], null, s3, s2, v[6:7]
	v_mov_b32_e32 v11, v7
	v_cmp_gt_u32_e64 s1, s4, v6
	v_cmp_gt_u32_e32 vcc_lo, s14, v10
	s_delay_alu instid0(VALU_DEP_3) | instskip(NEXT) | instid1(VALU_DEP_3)
	v_mad_u64_u32 v[12:13], null, v8, s14, v[10:11]
	s_and_b32 s0, s1, vcc_lo
	s_delay_alu instid0(VALU_DEP_1) | instskip(NEXT) | instid1(VALU_DEP_1)
	v_mov_b32_e32 v8, v13
	v_mad_u64_u32 v[18:19], null, v9, s14, v[8:9]
	s_delay_alu instid0(VALU_DEP_1) | instskip(NEXT) | instid1(VALU_DEP_1)
	v_mov_b32_e32 v13, v18
	v_lshlrev_b64 v[8:9], 2, v[12:13]
	s_and_saveexec_b32 s39, s0
	s_cbranch_execz .LBB36_5
; %bb.4:                                ;   in Loop: Header=BB36_3 Depth=1
	s_delay_alu instid0(VALU_DEP_1) | instskip(NEXT) | instid1(VALU_DEP_1)
	v_add_co_u32 v11, s0, s18, v8
	v_add_co_ci_u32_e64 v12, s0, s19, v9, s0
	global_load_b32 v0, v[11:12], off
.LBB36_5:                               ;   in Loop: Header=BB36_3 Depth=1
	s_or_b32 exec_lo, exec_lo, s39
	v_add_nc_u32_e32 v10, 16, v10
	s_delay_alu instid0(VALU_DEP_1) | instskip(NEXT) | instid1(VALU_DEP_1)
	v_cmp_gt_u32_e64 s0, s14, v10
	s_and_b32 s1, s1, s0
	s_delay_alu instid0(SALU_CYCLE_1)
	s_and_saveexec_b32 s39, s1
	s_cbranch_execz .LBB36_7
; %bb.6:                                ;   in Loop: Header=BB36_3 Depth=1
	v_add_co_u32 v10, s1, s28, v8
	s_delay_alu instid0(VALU_DEP_1)
	v_add_co_ci_u32_e64 v11, s1, s29, v9, s1
	global_load_b32 v2, v[10:11], off
.LBB36_7:                               ;   in Loop: Header=BB36_3 Depth=1
	s_or_b32 exec_lo, exec_lo, s39
	v_add_nc_u32_e32 v6, 16, v6
	s_delay_alu instid0(VALU_DEP_1) | instskip(NEXT) | instid1(VALU_DEP_1)
	v_cmp_gt_u32_e64 s1, s4, v6
	s_and_b32 s40, s1, vcc_lo
	s_delay_alu instid0(SALU_CYCLE_1)
	s_and_saveexec_b32 s39, s40
	s_cbranch_execz .LBB36_9
; %bb.8:                                ;   in Loop: Header=BB36_3 Depth=1
	v_add_co_u32 v10, vcc_lo, s26, v8
	v_add_co_ci_u32_e32 v11, vcc_lo, s27, v9, vcc_lo
	global_load_b32 v1, v[10:11], off
.LBB36_9:                               ;   in Loop: Header=BB36_3 Depth=1
	s_or_b32 exec_lo, exec_lo, s39
	s_and_b32 s1, s1, s0
	s_delay_alu instid0(SALU_CYCLE_1)
	s_and_saveexec_b32 s0, s1
	s_cbranch_execz .LBB36_11
; %bb.10:                               ;   in Loop: Header=BB36_3 Depth=1
	v_add_co_u32 v8, vcc_lo, s30, v8
	v_add_co_ci_u32_e32 v9, vcc_lo, s31, v9, vcc_lo
	global_load_b32 v3, v[8:9], off
.LBB36_11:                              ;   in Loop: Header=BB36_3 Depth=1
	s_or_b32 exec_lo, exec_lo, s0
	v_mad_u64_u32 v[12:13], null, s33, s38, v[4:5]
	s_waitcnt vmcnt(0)
	v_dual_mov_b32 v13, v7 :: v_dual_and_b32 v6, 0xffff, v0
	v_lshrrev_b32_e32 v9, 16, v0
	v_and_b32_e32 v10, 0xffff, v2
	v_lshrrev_b32_e32 v11, 16, v2
	s_delay_alu instid0(VALU_DEP_4)
	v_lshl_or_b32 v8, v1, 16, v6
	v_mad_u64_u32 v[18:19], null, s3, s24, v[12:13]
	v_or_b32_e32 v6, s37, v14
	v_and_or_b32 v9, 0xffff0000, v1, v9
	v_lshl_or_b32 v10, v3, 16, v10
	v_and_or_b32 v11, 0xffff0000, v3, v11
	v_cmp_gt_u32_e64 s1, s5, v12
	v_cmp_gt_u32_e32 vcc_lo, s4, v6
	v_mad_u64_u32 v[20:21], null, v18, s2, v[6:7]
	ds_store_b128 v16, v[8:11]
	s_waitcnt lgkmcnt(0)
	s_barrier
	buffer_gl0_inv
	ds_load_u16 v18, v17 offset:2
	ds_load_b64 v[8:9], v17 offset:6
	ds_load_u16 v13, v17 offset:14
	s_and_b32 s0, vcc_lo, s1
	v_mov_b32_e32 v10, v21
	s_delay_alu instid0(VALU_DEP_1) | instskip(NEXT) | instid1(VALU_DEP_1)
	v_mad_u64_u32 v[21:22], null, v19, s2, v[10:11]
	v_lshlrev_b64 v[10:11], 1, v[20:21]
	s_and_saveexec_b32 s3, s0
	s_cbranch_execz .LBB36_13
; %bb.12:                               ;   in Loop: Header=BB36_3 Depth=1
	ds_load_u16 v23, v17
	ds_load_u16 v24, v17 offset:4
	v_add_co_u32 v19, s0, s16, v10
	s_delay_alu instid0(VALU_DEP_1) | instskip(NEXT) | instid1(VALU_DEP_2)
	v_add_co_ci_u32_e64 v20, s0, s17, v11, s0
	v_add_co_u32 v21, s0, v19, s12
	s_delay_alu instid0(VALU_DEP_1)
	v_add_co_ci_u32_e64 v22, s0, s13, v20, s0
	s_waitcnt lgkmcnt(1)
	global_store_b16 v[19:20], v23, off
	s_waitcnt lgkmcnt(0)
	global_store_b16 v[21:22], v24, off
.LBB36_13:                              ;   in Loop: Header=BB36_3 Depth=1
	s_or_b32 exec_lo, exec_lo, s3
	v_or_b32_e32 v6, 16, v6
	s_delay_alu instid0(VALU_DEP_1) | instskip(NEXT) | instid1(VALU_DEP_1)
	v_cmp_gt_u32_e64 s0, s4, v6
	s_and_b32 s1, s0, s1
	s_delay_alu instid0(SALU_CYCLE_1)
	s_and_saveexec_b32 s3, s1
	s_cbranch_execz .LBB36_15
; %bb.14:                               ;   in Loop: Header=BB36_3 Depth=1
	v_add_co_u32 v19, s1, s16, v10
	s_delay_alu instid0(VALU_DEP_1) | instskip(NEXT) | instid1(VALU_DEP_2)
	v_add_co_ci_u32_e64 v20, s1, s17, v11, s1
	v_add_co_u32 v21, s1, v19, s12
	s_delay_alu instid0(VALU_DEP_1)
	v_add_co_ci_u32_e64 v22, s1, s13, v20, s1
	s_waitcnt lgkmcnt(2)
	global_store_b16 v[19:20], v18, off offset:32
	s_waitcnt lgkmcnt(1)
	global_store_b16 v[21:22], v8, off offset:32
.LBB36_15:                              ;   in Loop: Header=BB36_3 Depth=1
	s_or_b32 exec_lo, exec_lo, s3
	v_add_nc_u32_e32 v6, 32, v12
	s_delay_alu instid0(VALU_DEP_1) | instskip(NEXT) | instid1(VALU_DEP_1)
	v_cmp_gt_u32_e64 s1, s5, v6
	s_and_b32 s37, vcc_lo, s1
	s_delay_alu instid0(SALU_CYCLE_1)
	s_and_saveexec_b32 s3, s37
	s_cbranch_execz .LBB36_17
; %bb.16:                               ;   in Loop: Header=BB36_3 Depth=1
	v_add_co_u32 v6, vcc_lo, s16, v10
	v_add_co_ci_u32_e32 v12, vcc_lo, s17, v11, vcc_lo
	s_waitcnt lgkmcnt(2)
	s_delay_alu instid0(VALU_DEP_2) | instskip(NEXT) | instid1(VALU_DEP_2)
	v_add_co_u32 v18, vcc_lo, v6, s22
	v_add_co_ci_u32_e32 v19, vcc_lo, s23, v12, vcc_lo
	v_add_co_u32 v20, vcc_lo, v6, s20
	v_add_co_ci_u32_e32 v21, vcc_lo, s21, v12, vcc_lo
	s_waitcnt lgkmcnt(1)
	s_clause 0x1
	global_store_d16_hi_b16 v[18:19], v8, off
	global_store_d16_hi_b16 v[20:21], v9, off
.LBB36_17:                              ;   in Loop: Header=BB36_3 Depth=1
	s_or_b32 exec_lo, exec_lo, s3
	s_and_b32 s1, s0, s1
	s_delay_alu instid0(SALU_CYCLE_1)
	s_and_saveexec_b32 s0, s1
	s_cbranch_execz .LBB36_2
; %bb.18:                               ;   in Loop: Header=BB36_3 Depth=1
	v_add_co_u32 v6, vcc_lo, s16, v10
	s_waitcnt lgkmcnt(1)
	v_add_co_ci_u32_e32 v8, vcc_lo, s17, v11, vcc_lo
	s_delay_alu instid0(VALU_DEP_2) | instskip(NEXT) | instid1(VALU_DEP_2)
	v_add_co_u32 v10, vcc_lo, v6, s22
	v_add_co_ci_u32_e32 v11, vcc_lo, s23, v8, vcc_lo
	v_add_co_u32 v18, vcc_lo, v6, s20
	v_add_co_ci_u32_e32 v19, vcc_lo, s21, v8, vcc_lo
	global_store_b16 v[10:11], v9, off offset:32
	s_waitcnt lgkmcnt(0)
	global_store_b16 v[18:19], v13, off offset:32
	s_branch .LBB36_2
.LBB36_19:
	s_nop 0
	s_sendmsg sendmsg(MSG_DEALLOC_VGPRS)
	s_endpgm
	.section	.rodata,"a",@progbits
	.p2align	6, 0x0
	.amdhsa_kernel batched_transpose_64x32_pack_4x2_ediv_2x1_half
		.amdhsa_group_segment_fixed_size 4352
		.amdhsa_private_segment_fixed_size 0
		.amdhsa_kernarg_size 48
		.amdhsa_user_sgpr_count 15
		.amdhsa_user_sgpr_dispatch_ptr 0
		.amdhsa_user_sgpr_queue_ptr 0
		.amdhsa_user_sgpr_kernarg_segment_ptr 1
		.amdhsa_user_sgpr_dispatch_id 0
		.amdhsa_user_sgpr_private_segment_size 0
		.amdhsa_wavefront_size32 1
		.amdhsa_uses_dynamic_stack 0
		.amdhsa_enable_private_segment 0
		.amdhsa_system_sgpr_workgroup_id_x 1
		.amdhsa_system_sgpr_workgroup_id_y 0
		.amdhsa_system_sgpr_workgroup_id_z 0
		.amdhsa_system_sgpr_workgroup_info 0
		.amdhsa_system_vgpr_workitem_id 0
		.amdhsa_next_free_vgpr 25
		.amdhsa_next_free_sgpr 41
		.amdhsa_reserve_vcc 1
		.amdhsa_float_round_mode_32 0
		.amdhsa_float_round_mode_16_64 0
		.amdhsa_float_denorm_mode_32 3
		.amdhsa_float_denorm_mode_16_64 3
		.amdhsa_dx10_clamp 1
		.amdhsa_ieee_mode 1
		.amdhsa_fp16_overflow 0
		.amdhsa_workgroup_processor_mode 1
		.amdhsa_memory_ordered 1
		.amdhsa_forward_progress 0
		.amdhsa_shared_vgpr_count 0
		.amdhsa_exception_fp_ieee_invalid_op 0
		.amdhsa_exception_fp_denorm_src 0
		.amdhsa_exception_fp_ieee_div_zero 0
		.amdhsa_exception_fp_ieee_overflow 0
		.amdhsa_exception_fp_ieee_underflow 0
		.amdhsa_exception_fp_ieee_inexact 0
		.amdhsa_exception_int_div_zero 0
	.end_amdhsa_kernel
	.text
.Lfunc_end36:
	.size	batched_transpose_64x32_pack_4x2_ediv_2x1_half, .Lfunc_end36-batched_transpose_64x32_pack_4x2_ediv_2x1_half
                                        ; -- End function
	.section	.AMDGPU.csdata,"",@progbits
; Kernel info:
; codeLenInByte = 1192
; NumSgprs: 43
; NumVgprs: 25
; ScratchSize: 0
; MemoryBound: 0
; FloatMode: 240
; IeeeMode: 1
; LDSByteSize: 4352 bytes/workgroup (compile time only)
; SGPRBlocks: 5
; VGPRBlocks: 3
; NumSGPRsForWavesPerEU: 43
; NumVGPRsForWavesPerEU: 25
; Occupancy: 16
; WaveLimiterHint : 0
; COMPUTE_PGM_RSRC2:SCRATCH_EN: 0
; COMPUTE_PGM_RSRC2:USER_SGPR: 15
; COMPUTE_PGM_RSRC2:TRAP_HANDLER: 0
; COMPUTE_PGM_RSRC2:TGID_X_EN: 1
; COMPUTE_PGM_RSRC2:TGID_Y_EN: 0
; COMPUTE_PGM_RSRC2:TGID_Z_EN: 0
; COMPUTE_PGM_RSRC2:TIDIG_COMP_CNT: 0
	.text
	.protected	batched_transpose_32x64_pack_2x4_ediv_2x4_half ; -- Begin function batched_transpose_32x64_pack_2x4_ediv_2x4_half
	.globl	batched_transpose_32x64_pack_2x4_ediv_2x4_half
	.p2align	8
	.type	batched_transpose_32x64_pack_2x4_ediv_2x4_half,@function
batched_transpose_32x64_pack_2x4_ediv_2x4_half: ; @batched_transpose_32x64_pack_2x4_ediv_2x4_half
; %bb.0:
	s_load_b256 s[4:11], s[0:1], 0x10
	s_waitcnt lgkmcnt(0)
	s_cmp_ge_u32 s15, s7
	s_cbranch_scc1 .LBB37_7
; %bb.1:
	s_load_b128 s[16:19], s[0:1], 0x0
	v_dual_mov_b32 v3, 0 :: v_dual_and_b32 v6, 15, v0
	v_lshrrev_b32_e32 v1, 4, v0
	s_add_i32 s0, s4, 63
	s_lshr_b32 s12, s5, 1
	s_delay_alu instid0(VALU_DEP_2)
	v_mul_u32_u24_e32 v0, 17, v6
	s_lshr_b32 s1, s0, 6
	v_mul_u32_u24_e32 v2, 17, v1
	s_add_i32 s0, s5, 31
	s_mov_b32 s13, 0
	v_add_lshl_u32 v8, v0, v1, 4
	v_lshlrev_b32_e32 v0, 1, v1
	s_and_b32 s20, s0, 0xffffffe0
	s_lshr_b32 s0, s0, 1
	v_lshlrev_b32_e32 v7, 2, v1
	v_add_lshl_u32 v9, v2, v6, 4
	v_lshl_or_b32 v0, s15, 5, v0
	v_lshl_or_b32 v1, s15, 4, v6
	s_lshr_b32 s2, s4, 2
	s_and_b32 s22, s5, -2
	s_mov_b32 s23, s13
	s_mul_i32 s24, s12, 3
	s_mov_b32 s25, s13
	s_mov_b32 s3, s13
	s_and_b32 s0, s0, 0x7ffffff0
	s_mov_b32 s14, s5
	s_sub_i32 s28, 0, s20
	s_lshl_b32 s29, s6, 5
	s_sub_i32 s30, 0, s0
	s_lshl_b32 s31, s6, 4
	s_lshl_b64 s[20:21], s[12:13], 2
	s_lshl_b64 s[22:23], s[22:23], 2
	;; [unrolled: 1-line block ×4, first 2 shown]
	s_branch .LBB37_3
.LBB37_2:                               ;   in Loop: Header=BB37_3 Depth=1
	s_or_b32 exec_lo, exec_lo, s0
	v_add_nc_u32_e32 v0, s29, v0
	v_add_nc_u32_e32 v1, s31, v1
	s_add_i32 s15, s15, s6
	s_delay_alu instid0(SALU_CYCLE_1)
	s_cmp_lt_u32 s15, s7
	s_cbranch_scc0 .LBB37_7
.LBB37_3:                               ; =>This Inner Loop Header: Depth=1
	s_mul_hi_u32 s0, s10, s15
	s_waitcnt lgkmcnt(0)
	s_add_i32 s0, s15, s0
	s_waitcnt_vscnt null, 0x0
	s_barrier
	s_lshr_b32 s13, s0, s11
	buffer_gl0_inv
	s_mul_hi_u32 s0, s13, s8
	v_mad_u64_u32 v[4:5], null, s30, s13, v[1:2]
	s_add_i32 s0, s13, s0
	s_delay_alu instid0(SALU_CYCLE_1) | instskip(NEXT) | instid1(SALU_CYCLE_1)
	s_lshr_b32 s3, s0, s9
	s_mul_i32 s0, s3, s1
	s_delay_alu instid0(SALU_CYCLE_1) | instskip(NEXT) | instid1(VALU_DEP_1)
	s_sub_i32 s33, s13, s0
	v_cmp_gt_u32_e64 s0, s12, v4
	v_lshl_or_b32 v2, s33, 6, v7
	s_delay_alu instid0(VALU_DEP_1) | instskip(NEXT) | instid1(VALU_DEP_3)
	v_cmp_gt_u32_e32 vcc_lo, s4, v2
	s_and_b32 s34, vcc_lo, s0
	s_delay_alu instid0(SALU_CYCLE_1)
	s_and_saveexec_b32 s0, s34
	s_cbranch_execz .LBB37_5
; %bb.4:                                ;   in Loop: Header=BB37_3 Depth=1
	v_mad_u64_u32 v[10:11], null, s3, s4, v[2:3]
	v_mov_b32_e32 v5, v3
	s_delay_alu instid0(VALU_DEP_1) | instskip(NEXT) | instid1(VALU_DEP_3)
	v_lshlrev_b64 v[4:5], 2, v[4:5]
	v_mad_u64_u32 v[12:13], null, v10, s12, 0
	s_delay_alu instid0(VALU_DEP_1) | instskip(NEXT) | instid1(VALU_DEP_1)
	v_mov_b32_e32 v2, v13
	v_mad_u64_u32 v[13:14], null, v11, s12, v[2:3]
	s_delay_alu instid0(VALU_DEP_1) | instskip(NEXT) | instid1(VALU_DEP_1)
	v_lshlrev_b64 v[10:11], 2, v[12:13]
	v_add_co_u32 v2, vcc_lo, s18, v10
	s_delay_alu instid0(VALU_DEP_2) | instskip(NEXT) | instid1(VALU_DEP_2)
	v_add_co_ci_u32_e32 v10, vcc_lo, s19, v11, vcc_lo
	v_add_co_u32 v4, vcc_lo, v2, v4
	s_delay_alu instid0(VALU_DEP_2) | instskip(NEXT) | instid1(VALU_DEP_2)
	v_add_co_ci_u32_e32 v5, vcc_lo, v10, v5, vcc_lo
	v_add_co_u32 v10, vcc_lo, v4, s20
	s_delay_alu instid0(VALU_DEP_2)
	v_add_co_ci_u32_e32 v11, vcc_lo, s21, v5, vcc_lo
	v_add_co_u32 v12, vcc_lo, v4, s22
	v_add_co_ci_u32_e32 v13, vcc_lo, s23, v5, vcc_lo
	global_load_b32 v2, v[4:5], off
	v_add_co_u32 v4, vcc_lo, v4, s24
	v_add_co_ci_u32_e32 v5, vcc_lo, s25, v5, vcc_lo
	s_clause 0x2
	global_load_b32 v12, v[12:13], off
	global_load_b32 v11, v[10:11], off
	;; [unrolled: 1-line block ×3, first 2 shown]
	s_waitcnt vmcnt(3)
	v_and_b32_e32 v5, 0xffff, v2
	v_lshrrev_b32_e32 v2, 16, v2
	s_waitcnt vmcnt(2)
	v_and_b32_e32 v13, 0xffff, v12
	v_lshrrev_b32_e32 v14, 16, v12
	s_waitcnt vmcnt(1)
	v_lshl_or_b32 v10, v11, 16, v5
	v_and_or_b32 v12, 0xffff0000, v11, v2
	s_waitcnt vmcnt(0)
	v_lshl_or_b32 v11, v4, 16, v13
	v_and_or_b32 v13, 0xffff0000, v4, v14
	ds_store_b128 v8, v[10:13]
.LBB37_5:                               ;   in Loop: Header=BB37_3 Depth=1
	s_or_b32 exec_lo, exec_lo, s0
	v_mad_u64_u32 v[4:5], null, s28, s13, v[0:1]
	v_lshl_or_b32 v2, s33, 4, v6
	s_waitcnt lgkmcnt(0)
	s_barrier
	buffer_gl0_inv
	v_cmp_gt_u32_e32 vcc_lo, s2, v2
	v_cmp_gt_u32_e64 s0, s5, v4
	s_delay_alu instid0(VALU_DEP_1) | instskip(NEXT) | instid1(SALU_CYCLE_1)
	s_and_b32 s13, vcc_lo, s0
	s_and_saveexec_b32 s0, s13
	s_cbranch_execz .LBB37_2
; %bb.6:                                ;   in Loop: Header=BB37_3 Depth=1
	v_mov_b32_e32 v5, v3
	v_lshlrev_b64 v[14:15], 3, v[2:3]
	s_delay_alu instid0(VALU_DEP_2) | instskip(NEXT) | instid1(VALU_DEP_1)
	v_mad_u64_u32 v[10:11], null, s3, s14, v[4:5]
	v_mad_u64_u32 v[4:5], null, v10, s2, 0
	s_delay_alu instid0(VALU_DEP_1) | instskip(NEXT) | instid1(VALU_DEP_1)
	v_mad_u64_u32 v[12:13], null, v11, s2, v[5:6]
	v_mov_b32_e32 v5, v12
	ds_load_b128 v[10:13], v9
	v_lshlrev_b64 v[4:5], 3, v[4:5]
	s_delay_alu instid0(VALU_DEP_1) | instskip(NEXT) | instid1(VALU_DEP_2)
	v_add_co_u32 v2, vcc_lo, s16, v4
	v_add_co_ci_u32_e32 v5, vcc_lo, s17, v5, vcc_lo
	s_delay_alu instid0(VALU_DEP_2) | instskip(NEXT) | instid1(VALU_DEP_2)
	v_add_co_u32 v4, vcc_lo, v2, v14
	v_add_co_ci_u32_e32 v5, vcc_lo, v5, v15, vcc_lo
	s_delay_alu instid0(VALU_DEP_2) | instskip(NEXT) | instid1(VALU_DEP_2)
	v_add_co_u32 v14, vcc_lo, v4, s26
	v_add_co_ci_u32_e32 v15, vcc_lo, s27, v5, vcc_lo
	s_waitcnt lgkmcnt(0)
	s_clause 0x1
	global_store_b64 v[4:5], v[10:11], off
	global_store_b64 v[14:15], v[12:13], off
	s_branch .LBB37_2
.LBB37_7:
	s_nop 0
	s_sendmsg sendmsg(MSG_DEALLOC_VGPRS)
	s_endpgm
	.section	.rodata,"a",@progbits
	.p2align	6, 0x0
	.amdhsa_kernel batched_transpose_32x64_pack_2x4_ediv_2x4_half
		.amdhsa_group_segment_fixed_size 4352
		.amdhsa_private_segment_fixed_size 0
		.amdhsa_kernarg_size 48
		.amdhsa_user_sgpr_count 15
		.amdhsa_user_sgpr_dispatch_ptr 0
		.amdhsa_user_sgpr_queue_ptr 0
		.amdhsa_user_sgpr_kernarg_segment_ptr 1
		.amdhsa_user_sgpr_dispatch_id 0
		.amdhsa_user_sgpr_private_segment_size 0
		.amdhsa_wavefront_size32 1
		.amdhsa_uses_dynamic_stack 0
		.amdhsa_enable_private_segment 0
		.amdhsa_system_sgpr_workgroup_id_x 1
		.amdhsa_system_sgpr_workgroup_id_y 0
		.amdhsa_system_sgpr_workgroup_id_z 0
		.amdhsa_system_sgpr_workgroup_info 0
		.amdhsa_system_vgpr_workitem_id 0
		.amdhsa_next_free_vgpr 16
		.amdhsa_next_free_sgpr 35
		.amdhsa_reserve_vcc 1
		.amdhsa_float_round_mode_32 0
		.amdhsa_float_round_mode_16_64 0
		.amdhsa_float_denorm_mode_32 3
		.amdhsa_float_denorm_mode_16_64 3
		.amdhsa_dx10_clamp 1
		.amdhsa_ieee_mode 1
		.amdhsa_fp16_overflow 0
		.amdhsa_workgroup_processor_mode 1
		.amdhsa_memory_ordered 1
		.amdhsa_forward_progress 0
		.amdhsa_shared_vgpr_count 0
		.amdhsa_exception_fp_ieee_invalid_op 0
		.amdhsa_exception_fp_denorm_src 0
		.amdhsa_exception_fp_ieee_div_zero 0
		.amdhsa_exception_fp_ieee_overflow 0
		.amdhsa_exception_fp_ieee_underflow 0
		.amdhsa_exception_fp_ieee_inexact 0
		.amdhsa_exception_int_div_zero 0
	.end_amdhsa_kernel
	.text
.Lfunc_end37:
	.size	batched_transpose_32x64_pack_2x4_ediv_2x4_half, .Lfunc_end37-batched_transpose_32x64_pack_2x4_ediv_2x4_half
                                        ; -- End function
	.section	.AMDGPU.csdata,"",@progbits
; Kernel info:
; codeLenInByte = 804
; NumSgprs: 37
; NumVgprs: 16
; ScratchSize: 0
; MemoryBound: 0
; FloatMode: 240
; IeeeMode: 1
; LDSByteSize: 4352 bytes/workgroup (compile time only)
; SGPRBlocks: 4
; VGPRBlocks: 1
; NumSGPRsForWavesPerEU: 37
; NumVGPRsForWavesPerEU: 16
; Occupancy: 16
; WaveLimiterHint : 0
; COMPUTE_PGM_RSRC2:SCRATCH_EN: 0
; COMPUTE_PGM_RSRC2:USER_SGPR: 15
; COMPUTE_PGM_RSRC2:TRAP_HANDLER: 0
; COMPUTE_PGM_RSRC2:TGID_X_EN: 1
; COMPUTE_PGM_RSRC2:TGID_Y_EN: 0
; COMPUTE_PGM_RSRC2:TGID_Z_EN: 0
; COMPUTE_PGM_RSRC2:TIDIG_COMP_CNT: 0
	.text
	.protected	batched_transpose_32x64_pack_2x4_ediv_2x2_half ; -- Begin function batched_transpose_32x64_pack_2x4_ediv_2x2_half
	.globl	batched_transpose_32x64_pack_2x4_ediv_2x2_half
	.p2align	8
	.type	batched_transpose_32x64_pack_2x4_ediv_2x2_half,@function
batched_transpose_32x64_pack_2x4_ediv_2x2_half: ; @batched_transpose_32x64_pack_2x4_ediv_2x2_half
; %bb.0:
	s_load_b256 s[4:11], s[0:1], 0x10
	s_waitcnt lgkmcnt(0)
	s_cmp_ge_u32 s15, s7
	s_cbranch_scc1 .LBB38_11
; %bb.1:
	s_load_b128 s[16:19], s[0:1], 0x0
	v_lshrrev_b32_e32 v1, 4, v0
	v_dual_mov_b32 v7, 0 :: v_dual_and_b32 v12, 15, v0
	s_add_i32 s0, s4, 63
	s_lshr_b32 s12, s5, 1
	s_delay_alu instid0(VALU_DEP_2) | instskip(NEXT) | instid1(VALU_DEP_2)
	v_lshlrev_b32_e32 v13, 1, v1
	v_mul_u32_u24_e32 v0, 17, v12
	v_mul_u32_u24_e32 v2, 17, v1
	s_lshr_b32 s1, s0, 6
	s_add_i32 s0, s5, 31
	s_mov_b32 s13, 0
	s_and_b32 s20, s0, 0xffffffe0
	s_lshr_b32 s0, s0, 1
	v_add_lshl_u32 v14, v0, v1, 4
	v_add_lshl_u32 v15, v2, v12, 4
	v_lshl_or_b32 v4, s15, 5, v13
	v_lshl_or_b32 v5, s15, 4, v12
	s_lshr_b32 s2, s4, 1
	s_lshl_b32 s24, s12, 5
	s_mov_b32 s25, s13
	s_mul_i32 s22, s12, 33
	s_mov_b32 s23, s13
	s_mov_b32 s3, s13
	s_and_b32 s0, s0, 0x7ffffff0
	s_mov_b32 s14, s5
	s_sub_i32 s28, 0, s20
	s_lshl_b32 s29, s6, 5
	s_sub_i32 s30, 0, s0
	s_lshl_b32 s31, s6, 4
	s_lshl_b64 s[20:21], s[12:13], 2
	s_lshl_b64 s[22:23], s[22:23], 2
	;; [unrolled: 1-line block ×4, first 2 shown]
                                        ; implicit-def: $vgpr0_vgpr1_vgpr2_vgpr3
	s_branch .LBB38_3
.LBB38_2:                               ;   in Loop: Header=BB38_3 Depth=1
	s_or_b32 exec_lo, exec_lo, s0
	v_add_nc_u32_e32 v4, s29, v4
	v_add_nc_u32_e32 v5, s31, v5
	s_add_i32 s15, s15, s6
	s_delay_alu instid0(SALU_CYCLE_1)
	s_cmp_lt_u32 s15, s7
	s_cbranch_scc0 .LBB38_11
.LBB38_3:                               ; =>This Inner Loop Header: Depth=1
	s_mul_hi_u32 s0, s10, s15
	s_waitcnt lgkmcnt(0)
	s_add_i32 s0, s15, s0
	s_waitcnt_vscnt null, 0x0
	s_barrier
	s_lshr_b32 s33, s0, s11
	buffer_gl0_inv
	s_mul_hi_u32 s0, s33, s8
	s_delay_alu instid0(SALU_CYCLE_1) | instskip(NEXT) | instid1(SALU_CYCLE_1)
	s_add_i32 s0, s33, s0
	s_lshr_b32 s13, s0, s9
	s_delay_alu instid0(SALU_CYCLE_1) | instskip(NEXT) | instid1(SALU_CYCLE_1)
	s_mul_i32 s0, s13, s1
	s_sub_i32 s3, s33, s0
	s_delay_alu instid0(SALU_CYCLE_1) | instskip(NEXT) | instid1(VALU_DEP_1)
	v_lshl_or_b32 v6, s3, 6, v13
	v_mad_u64_u32 v[8:9], null, s30, s33, v[5:6]
	v_mad_u64_u32 v[10:11], null, s13, s4, v[6:7]
	v_mov_b32_e32 v9, v7
	v_cmp_gt_u32_e64 s0, s4, v6
	s_delay_alu instid0(VALU_DEP_4) | instskip(NEXT) | instid1(VALU_DEP_3)
	v_cmp_gt_u32_e32 vcc_lo, s12, v8
	v_mad_u64_u32 v[16:17], null, v10, s12, v[8:9]
	s_delay_alu instid0(VALU_DEP_3) | instskip(NEXT) | instid1(VALU_DEP_1)
	s_and_b32 s0, s0, vcc_lo
	v_mov_b32_e32 v9, v17
	s_delay_alu instid0(VALU_DEP_1) | instskip(NEXT) | instid1(VALU_DEP_1)
	v_mad_u64_u32 v[17:18], null, v11, s12, v[9:10]
	v_lshlrev_b64 v[8:9], 2, v[16:17]
	s_and_saveexec_b32 s34, s0
; %bb.4:                                ;   in Loop: Header=BB38_3 Depth=1
	s_delay_alu instid0(VALU_DEP_1) | instskip(NEXT) | instid1(VALU_DEP_1)
	v_add_co_u32 v0, s0, s18, v8
	v_add_co_ci_u32_e64 v1, s0, s19, v9, s0
	s_delay_alu instid0(VALU_DEP_2) | instskip(NEXT) | instid1(VALU_DEP_1)
	v_add_co_u32 v10, s0, v0, s20
	v_add_co_ci_u32_e64 v11, s0, s21, v1, s0
	s_clause 0x1
	global_load_b32 v0, v[0:1], off
	global_load_b32 v1, v[10:11], off
; %bb.5:                                ;   in Loop: Header=BB38_3 Depth=1
	s_or_b32 exec_lo, exec_lo, s34
	v_add_nc_u32_e32 v6, 32, v6
	s_delay_alu instid0(VALU_DEP_1) | instskip(NEXT) | instid1(VALU_DEP_1)
	v_cmp_gt_u32_e64 s0, s4, v6
	s_and_b32 s34, s0, vcc_lo
	s_delay_alu instid0(SALU_CYCLE_1)
	s_and_saveexec_b32 s0, s34
; %bb.6:                                ;   in Loop: Header=BB38_3 Depth=1
	v_add_co_u32 v6, vcc_lo, s18, v8
	v_add_co_ci_u32_e32 v9, vcc_lo, s19, v9, vcc_lo
	s_delay_alu instid0(VALU_DEP_2) | instskip(NEXT) | instid1(VALU_DEP_2)
	v_add_co_u32 v2, vcc_lo, v6, s24
	v_add_co_ci_u32_e32 v3, vcc_lo, s25, v9, vcc_lo
	v_add_co_u32 v8, vcc_lo, v6, s22
	v_add_co_ci_u32_e32 v9, vcc_lo, s23, v9, vcc_lo
	s_clause 0x1
	global_load_b32 v2, v[2:3], off
	global_load_b32 v3, v[8:9], off
; %bb.7:                                ;   in Loop: Header=BB38_3 Depth=1
	s_or_b32 exec_lo, exec_lo, s0
	v_mad_u64_u32 v[16:17], null, s28, s33, v[4:5]
	s_waitcnt vmcnt(1)
	v_dual_mov_b32 v17, v7 :: v_dual_and_b32 v6, 0xffff, v0
	v_lshrrev_b32_e32 v9, 16, v0
	s_waitcnt vmcnt(0)
	s_delay_alu instid0(VALU_DEP_2) | instskip(NEXT) | instid1(VALU_DEP_3)
	v_lshl_or_b32 v8, v1, 16, v6
	v_mad_u64_u32 v[18:19], null, s13, s14, v[16:17]
	v_lshl_or_b32 v6, s3, 5, v12
	v_lshrrev_b32_e32 v17, 16, v2
	v_and_or_b32 v10, 0xffff0000, v1, v9
	v_cmp_gt_u32_e32 vcc_lo, s5, v16
	s_delay_alu instid0(VALU_DEP_4) | instskip(SKIP_2) | instid1(VALU_DEP_3)
	v_cmp_gt_u32_e64 s0, s2, v6
	v_mad_u64_u32 v[20:21], null, v18, s2, v[6:7]
	v_and_b32_e32 v11, 0xffff, v2
	s_and_b32 s0, s0, vcc_lo
	s_delay_alu instid0(VALU_DEP_1)
	v_lshl_or_b32 v9, v3, 16, v11
	v_and_or_b32 v11, 0xffff0000, v3, v17
	ds_store_b128 v14, v[8:11]
	v_mov_b32_e32 v10, v21
	s_waitcnt lgkmcnt(0)
	s_barrier
	buffer_gl0_inv
	ds_load_2addr_b32 v[8:9], v15 offset0:1 offset1:3
	v_mad_u64_u32 v[17:18], null, v19, s2, v[10:11]
	s_delay_alu instid0(VALU_DEP_1) | instskip(NEXT) | instid1(VALU_DEP_1)
	v_mov_b32_e32 v21, v17
	v_lshlrev_b64 v[10:11], 2, v[20:21]
	s_and_saveexec_b32 s3, s0
	s_cbranch_execz .LBB38_9
; %bb.8:                                ;   in Loop: Header=BB38_3 Depth=1
	ds_load_2addr_b32 v[16:17], v15 offset1:2
	v_add_co_u32 v18, s0, s16, v10
	s_delay_alu instid0(VALU_DEP_1) | instskip(NEXT) | instid1(VALU_DEP_2)
	v_add_co_ci_u32_e64 v19, s0, s17, v11, s0
	v_add_co_u32 v20, s0, v18, s26
	s_delay_alu instid0(VALU_DEP_1)
	v_add_co_ci_u32_e64 v21, s0, s27, v19, s0
	s_waitcnt lgkmcnt(0)
	s_clause 0x1
	global_store_b32 v[18:19], v16, off
	global_store_b32 v[20:21], v17, off
.LBB38_9:                               ;   in Loop: Header=BB38_3 Depth=1
	s_or_b32 exec_lo, exec_lo, s3
	v_or_b32_e32 v6, 16, v6
	s_delay_alu instid0(VALU_DEP_1) | instskip(NEXT) | instid1(VALU_DEP_1)
	v_cmp_gt_u32_e64 s0, s2, v6
	s_and_b32 s3, s0, vcc_lo
	s_delay_alu instid0(SALU_CYCLE_1)
	s_and_saveexec_b32 s0, s3
	s_cbranch_execz .LBB38_2
; %bb.10:                               ;   in Loop: Header=BB38_3 Depth=1
	v_add_co_u32 v10, vcc_lo, s16, v10
	v_add_co_ci_u32_e32 v11, vcc_lo, s17, v11, vcc_lo
	s_delay_alu instid0(VALU_DEP_2) | instskip(NEXT) | instid1(VALU_DEP_2)
	v_add_co_u32 v16, vcc_lo, v10, s26
	v_add_co_ci_u32_e32 v17, vcc_lo, s27, v11, vcc_lo
	s_waitcnt lgkmcnt(0)
	s_clause 0x1
	global_store_b32 v[10:11], v8, off offset:64
	global_store_b32 v[16:17], v9, off offset:64
	s_branch .LBB38_2
.LBB38_11:
	s_nop 0
	s_sendmsg sendmsg(MSG_DEALLOC_VGPRS)
	s_endpgm
	.section	.rodata,"a",@progbits
	.p2align	6, 0x0
	.amdhsa_kernel batched_transpose_32x64_pack_2x4_ediv_2x2_half
		.amdhsa_group_segment_fixed_size 4352
		.amdhsa_private_segment_fixed_size 0
		.amdhsa_kernarg_size 48
		.amdhsa_user_sgpr_count 15
		.amdhsa_user_sgpr_dispatch_ptr 0
		.amdhsa_user_sgpr_queue_ptr 0
		.amdhsa_user_sgpr_kernarg_segment_ptr 1
		.amdhsa_user_sgpr_dispatch_id 0
		.amdhsa_user_sgpr_private_segment_size 0
		.amdhsa_wavefront_size32 1
		.amdhsa_uses_dynamic_stack 0
		.amdhsa_enable_private_segment 0
		.amdhsa_system_sgpr_workgroup_id_x 1
		.amdhsa_system_sgpr_workgroup_id_y 0
		.amdhsa_system_sgpr_workgroup_id_z 0
		.amdhsa_system_sgpr_workgroup_info 0
		.amdhsa_system_vgpr_workitem_id 0
		.amdhsa_next_free_vgpr 22
		.amdhsa_next_free_sgpr 35
		.amdhsa_reserve_vcc 1
		.amdhsa_float_round_mode_32 0
		.amdhsa_float_round_mode_16_64 0
		.amdhsa_float_denorm_mode_32 3
		.amdhsa_float_denorm_mode_16_64 3
		.amdhsa_dx10_clamp 1
		.amdhsa_ieee_mode 1
		.amdhsa_fp16_overflow 0
		.amdhsa_workgroup_processor_mode 1
		.amdhsa_memory_ordered 1
		.amdhsa_forward_progress 0
		.amdhsa_shared_vgpr_count 0
		.amdhsa_exception_fp_ieee_invalid_op 0
		.amdhsa_exception_fp_denorm_src 0
		.amdhsa_exception_fp_ieee_div_zero 0
		.amdhsa_exception_fp_ieee_overflow 0
		.amdhsa_exception_fp_ieee_underflow 0
		.amdhsa_exception_fp_ieee_inexact 0
		.amdhsa_exception_int_div_zero 0
	.end_amdhsa_kernel
	.text
.Lfunc_end38:
	.size	batched_transpose_32x64_pack_2x4_ediv_2x2_half, .Lfunc_end38-batched_transpose_32x64_pack_2x4_ediv_2x2_half
                                        ; -- End function
	.section	.AMDGPU.csdata,"",@progbits
; Kernel info:
; codeLenInByte = 908
; NumSgprs: 37
; NumVgprs: 22
; ScratchSize: 0
; MemoryBound: 0
; FloatMode: 240
; IeeeMode: 1
; LDSByteSize: 4352 bytes/workgroup (compile time only)
; SGPRBlocks: 4
; VGPRBlocks: 2
; NumSGPRsForWavesPerEU: 37
; NumVGPRsForWavesPerEU: 22
; Occupancy: 16
; WaveLimiterHint : 0
; COMPUTE_PGM_RSRC2:SCRATCH_EN: 0
; COMPUTE_PGM_RSRC2:USER_SGPR: 15
; COMPUTE_PGM_RSRC2:TRAP_HANDLER: 0
; COMPUTE_PGM_RSRC2:TGID_X_EN: 1
; COMPUTE_PGM_RSRC2:TGID_Y_EN: 0
; COMPUTE_PGM_RSRC2:TGID_Z_EN: 0
; COMPUTE_PGM_RSRC2:TIDIG_COMP_CNT: 0
	.text
	.protected	batched_transpose_32x64_pack_2x4_ediv_1x2_half ; -- Begin function batched_transpose_32x64_pack_2x4_ediv_1x2_half
	.globl	batched_transpose_32x64_pack_2x4_ediv_1x2_half
	.p2align	8
	.type	batched_transpose_32x64_pack_2x4_ediv_1x2_half,@function
batched_transpose_32x64_pack_2x4_ediv_1x2_half: ; @batched_transpose_32x64_pack_2x4_ediv_1x2_half
; %bb.0:
	s_load_b256 s[4:11], s[0:1], 0x10
	s_waitcnt lgkmcnt(0)
	s_cmp_ge_u32 s15, s7
	s_cbranch_scc1 .LBB39_19
; %bb.1:
	s_load_b128 s[16:19], s[0:1], 0x0
	s_lshr_b32 s14, s4, 1
	s_mov_b32 s3, 0
	v_dual_mov_b32 v5, 0 :: v_dual_and_b32 v12, 15, v0
	v_lshrrev_b32_e32 v13, 4, v0
	s_lshl_b32 s12, s14, 4
	s_mov_b32 s13, s3
	s_add_i32 s1, s4, 63
	s_lshl_b64 s[12:13], s[12:13], 2
	s_add_i32 s22, s5, 31
	s_lshl_b32 s0, s5, 5
	s_lshr_b32 s24, s1, 6
	v_mul_u32_u24_e32 v0, 17, v12
	v_mul_u32_u24_e32 v1, 17, v13
	v_lshlrev_b32_e32 v14, 1, v13
	s_mov_b32 s2, s5
	s_mul_i32 s20, s5, 33
	v_add_lshl_u32 v15, v0, v13, 4
	v_add_lshl_u32 v16, v1, v12, 4
	s_waitcnt lgkmcnt(0)
	s_add_u32 s25, s16, s12
	s_addc_u32 s26, s17, s13
	s_add_u32 s27, s16, 64
	s_addc_u32 s28, s17, 0
	s_add_u32 s29, s25, 64
	s_mov_b32 s1, s3
	s_mov_b32 s21, s3
	s_addc_u32 s30, s26, 0
	s_and_not1_b32 s22, s22, 31
	s_lshl_b32 s33, s15, 5
	s_sub_i32 s31, 0, s22
	s_lshl_b32 s34, s6, 5
	s_lshl_b64 s[12:13], s[2:3], 1
	s_lshl_b64 s[20:21], s[20:21], 1
	s_lshl_b64 s[22:23], s[0:1], 1
                                        ; implicit-def: $vgpr0_vgpr1_vgpr2_vgpr3
	s_branch .LBB39_3
.LBB39_2:                               ;   in Loop: Header=BB39_3 Depth=1
	s_or_b32 exec_lo, exec_lo, s0
	s_add_i32 s15, s15, s6
	s_add_i32 s33, s33, s34
	s_cmp_lt_u32 s15, s7
	s_cbranch_scc0 .LBB39_19
.LBB39_3:                               ; =>This Inner Loop Header: Depth=1
	s_mul_hi_u32 s0, s10, s15
	s_waitcnt lgkmcnt(1)
	v_mov_b32_e32 v9, v5
	s_add_i32 s0, s15, s0
	s_delay_alu instid0(SALU_CYCLE_1)
	s_lshr_b32 s0, s0, s11
	s_waitcnt lgkmcnt(0)
	s_waitcnt_vscnt null, 0x0
	s_barrier
	s_mul_hi_u32 s1, s0, s8
	s_mul_i32 s36, s31, s0
	s_add_i32 s1, s0, s1
	v_add3_u32 v8, s36, s33, v12
	s_lshr_b32 s35, s1, s9
	buffer_gl0_inv
	s_mul_i32 s1, s35, s24
	v_cmp_gt_u32_e32 vcc_lo, s5, v8
	s_sub_i32 s3, s0, s1
	s_delay_alu instid0(SALU_CYCLE_1) | instskip(NEXT) | instid1(VALU_DEP_1)
	v_lshl_or_b32 v4, s3, 6, v14
	v_mad_u64_u32 v[6:7], null, s35, s4, v[4:5]
	v_cmp_gt_u32_e64 s1, s4, v4
	s_delay_alu instid0(VALU_DEP_1) | instskip(NEXT) | instid1(VALU_DEP_2)
	s_and_b32 s0, s1, vcc_lo
	v_mad_u64_u32 v[10:11], null, v6, s2, v[8:9]
	s_delay_alu instid0(VALU_DEP_1) | instskip(NEXT) | instid1(VALU_DEP_1)
	v_mov_b32_e32 v6, v11
	v_mad_u64_u32 v[17:18], null, v7, s2, v[6:7]
	s_delay_alu instid0(VALU_DEP_1) | instskip(NEXT) | instid1(VALU_DEP_1)
	v_mov_b32_e32 v11, v17
	v_lshlrev_b64 v[6:7], 1, v[10:11]
	s_and_saveexec_b32 s37, s0
; %bb.4:                                ;   in Loop: Header=BB39_3 Depth=1
	s_delay_alu instid0(VALU_DEP_1) | instskip(NEXT) | instid1(VALU_DEP_1)
	v_add_co_u32 v9, s0, s18, v6
	v_add_co_ci_u32_e64 v10, s0, s19, v7, s0
	s_delay_alu instid0(VALU_DEP_2) | instskip(NEXT) | instid1(VALU_DEP_1)
	v_add_co_u32 v17, s0, v9, s12
	v_add_co_ci_u32_e64 v18, s0, s13, v10, s0
	s_clause 0x1
	global_load_d16_b16 v0, v[9:10], off
	global_load_d16_b16 v1, v[17:18], off
; %bb.5:                                ;   in Loop: Header=BB39_3 Depth=1
	s_or_b32 exec_lo, exec_lo, s37
	v_add_nc_u32_e32 v8, 16, v8
	s_delay_alu instid0(VALU_DEP_1) | instskip(NEXT) | instid1(VALU_DEP_1)
	v_cmp_gt_u32_e64 s0, s5, v8
	s_and_b32 s1, s1, s0
	s_delay_alu instid0(SALU_CYCLE_1)
	s_and_saveexec_b32 s37, s1
; %bb.6:                                ;   in Loop: Header=BB39_3 Depth=1
	v_add_co_u32 v8, s1, s18, v6
	s_delay_alu instid0(VALU_DEP_1) | instskip(NEXT) | instid1(VALU_DEP_2)
	v_add_co_ci_u32_e64 v9, s1, s19, v7, s1
	v_add_co_u32 v10, s1, v8, s12
	s_delay_alu instid0(VALU_DEP_1)
	v_add_co_ci_u32_e64 v11, s1, s13, v9, s1
	s_clause 0x1
	global_load_d16_hi_b16 v0, v[8:9], off offset:32
	global_load_d16_hi_b16 v1, v[10:11], off offset:32
; %bb.7:                                ;   in Loop: Header=BB39_3 Depth=1
	s_or_b32 exec_lo, exec_lo, s37
	v_add_nc_u32_e32 v4, 32, v4
	s_delay_alu instid0(VALU_DEP_1) | instskip(NEXT) | instid1(VALU_DEP_1)
	v_cmp_gt_u32_e64 s1, s4, v4
	s_and_b32 s38, s1, vcc_lo
	s_delay_alu instid0(SALU_CYCLE_1)
	s_and_saveexec_b32 s37, s38
; %bb.8:                                ;   in Loop: Header=BB39_3 Depth=1
	v_add_co_u32 v4, vcc_lo, s18, v6
	v_add_co_ci_u32_e32 v11, vcc_lo, s19, v7, vcc_lo
	s_delay_alu instid0(VALU_DEP_2) | instskip(NEXT) | instid1(VALU_DEP_2)
	v_add_co_u32 v8, vcc_lo, v4, s22
	v_add_co_ci_u32_e32 v9, vcc_lo, s23, v11, vcc_lo
	v_add_co_u32 v10, vcc_lo, v4, s20
	v_add_co_ci_u32_e32 v11, vcc_lo, s21, v11, vcc_lo
	s_clause 0x1
	global_load_d16_b16 v2, v[8:9], off
	global_load_d16_b16 v3, v[10:11], off
; %bb.9:                                ;   in Loop: Header=BB39_3 Depth=1
	s_or_b32 exec_lo, exec_lo, s37
	s_and_b32 s1, s1, s0
	s_delay_alu instid0(SALU_CYCLE_1)
	s_and_saveexec_b32 s0, s1
; %bb.10:                               ;   in Loop: Header=BB39_3 Depth=1
	v_add_co_u32 v4, vcc_lo, s18, v6
	v_add_co_ci_u32_e32 v9, vcc_lo, s19, v7, vcc_lo
	s_delay_alu instid0(VALU_DEP_2) | instskip(NEXT) | instid1(VALU_DEP_2)
	v_add_co_u32 v6, vcc_lo, v4, s22
	v_add_co_ci_u32_e32 v7, vcc_lo, s23, v9, vcc_lo
	v_add_co_u32 v8, vcc_lo, v4, s20
	v_add_co_ci_u32_e32 v9, vcc_lo, s21, v9, vcc_lo
	s_clause 0x1
	global_load_d16_hi_b16 v2, v[6:7], off offset:32
	global_load_d16_hi_b16 v3, v[8:9], off offset:32
; %bb.11:                               ;   in Loop: Header=BB39_3 Depth=1
	s_or_b32 exec_lo, exec_lo, s0
	v_add3_u32 v4, s36, s33, v13
	v_lshl_or_b32 v10, s3, 5, v12
	v_mov_b32_e32 v11, v5
	s_waitcnt vmcnt(0)
	v_perm_b32 v6, v0, v1, 0x1000504
	v_perm_b32 v8, v0, v1, 0x3020706
	v_mad_u64_u32 v[17:18], null, s35, s2, v[4:5]
	v_perm_b32 v7, v2, v3, 0x1000504
	v_perm_b32 v9, v2, v3, 0x3020706
	v_cmp_gt_u32_e32 vcc_lo, s14, v10
	v_cmp_gt_u32_e64 s1, s5, v4
	ds_store_b128 v15, v[6:9]
	v_mad_u64_u32 v[19:20], null, v17, s14, v[10:11]
	s_waitcnt lgkmcnt(0)
	s_barrier
	buffer_gl0_inv
	ds_load_2addr_b32 v[8:9], v16 offset0:1 offset1:2
	ds_load_b32 v11, v16 offset:12
	s_and_b32 s0, s1, vcc_lo
	v_mov_b32_e32 v6, v20
	s_delay_alu instid0(VALU_DEP_1) | instskip(NEXT) | instid1(VALU_DEP_1)
	v_mad_u64_u32 v[20:21], null, v18, s14, v[6:7]
	v_lshlrev_b64 v[6:7], 2, v[19:20]
	s_and_saveexec_b32 s3, s0
	s_cbranch_execz .LBB39_13
; %bb.12:                               ;   in Loop: Header=BB39_3 Depth=1
	ds_load_b32 v19, v16
	v_add_co_u32 v17, s0, s16, v6
	s_delay_alu instid0(VALU_DEP_1)
	v_add_co_ci_u32_e64 v18, s0, s17, v7, s0
	s_waitcnt lgkmcnt(0)
	global_store_b32 v[17:18], v19, off
.LBB39_13:                              ;   in Loop: Header=BB39_3 Depth=1
	s_or_b32 exec_lo, exec_lo, s3
	v_or_b32_e32 v10, 16, v10
	s_delay_alu instid0(VALU_DEP_1) | instskip(NEXT) | instid1(VALU_DEP_1)
	v_cmp_gt_u32_e64 s0, s14, v10
	s_and_b32 s1, s1, s0
	s_delay_alu instid0(SALU_CYCLE_1)
	s_and_saveexec_b32 s3, s1
	s_cbranch_execz .LBB39_15
; %bb.14:                               ;   in Loop: Header=BB39_3 Depth=1
	v_add_co_u32 v17, s1, s27, v6
	s_delay_alu instid0(VALU_DEP_1)
	v_add_co_ci_u32_e64 v18, s1, s28, v7, s1
	s_waitcnt lgkmcnt(1)
	global_store_b32 v[17:18], v8, off
.LBB39_15:                              ;   in Loop: Header=BB39_3 Depth=1
	s_or_b32 exec_lo, exec_lo, s3
	v_add_nc_u32_e32 v4, 16, v4
	s_delay_alu instid0(VALU_DEP_1) | instskip(NEXT) | instid1(VALU_DEP_1)
	v_cmp_gt_u32_e64 s1, s5, v4
	s_and_b32 s35, s1, vcc_lo
	s_delay_alu instid0(SALU_CYCLE_1)
	s_and_saveexec_b32 s3, s35
	s_cbranch_execz .LBB39_17
; %bb.16:                               ;   in Loop: Header=BB39_3 Depth=1
	v_add_co_u32 v17, vcc_lo, s25, v6
	v_add_co_ci_u32_e32 v18, vcc_lo, s26, v7, vcc_lo
	s_waitcnt lgkmcnt(1)
	global_store_b32 v[17:18], v9, off
.LBB39_17:                              ;   in Loop: Header=BB39_3 Depth=1
	s_or_b32 exec_lo, exec_lo, s3
	s_and_b32 s1, s1, s0
	s_delay_alu instid0(SALU_CYCLE_1)
	s_and_saveexec_b32 s0, s1
	s_cbranch_execz .LBB39_2
; %bb.18:                               ;   in Loop: Header=BB39_3 Depth=1
	v_add_co_u32 v6, vcc_lo, s29, v6
	v_add_co_ci_u32_e32 v7, vcc_lo, s30, v7, vcc_lo
	s_waitcnt lgkmcnt(0)
	global_store_b32 v[6:7], v11, off
	s_branch .LBB39_2
.LBB39_19:
	s_nop 0
	s_sendmsg sendmsg(MSG_DEALLOC_VGPRS)
	s_endpgm
	.section	.rodata,"a",@progbits
	.p2align	6, 0x0
	.amdhsa_kernel batched_transpose_32x64_pack_2x4_ediv_1x2_half
		.amdhsa_group_segment_fixed_size 4352
		.amdhsa_private_segment_fixed_size 0
		.amdhsa_kernarg_size 48
		.amdhsa_user_sgpr_count 15
		.amdhsa_user_sgpr_dispatch_ptr 0
		.amdhsa_user_sgpr_queue_ptr 0
		.amdhsa_user_sgpr_kernarg_segment_ptr 1
		.amdhsa_user_sgpr_dispatch_id 0
		.amdhsa_user_sgpr_private_segment_size 0
		.amdhsa_wavefront_size32 1
		.amdhsa_uses_dynamic_stack 0
		.amdhsa_enable_private_segment 0
		.amdhsa_system_sgpr_workgroup_id_x 1
		.amdhsa_system_sgpr_workgroup_id_y 0
		.amdhsa_system_sgpr_workgroup_id_z 0
		.amdhsa_system_sgpr_workgroup_info 0
		.amdhsa_system_vgpr_workitem_id 0
		.amdhsa_next_free_vgpr 22
		.amdhsa_next_free_sgpr 39
		.amdhsa_reserve_vcc 1
		.amdhsa_float_round_mode_32 0
		.amdhsa_float_round_mode_16_64 0
		.amdhsa_float_denorm_mode_32 3
		.amdhsa_float_denorm_mode_16_64 3
		.amdhsa_dx10_clamp 1
		.amdhsa_ieee_mode 1
		.amdhsa_fp16_overflow 0
		.amdhsa_workgroup_processor_mode 1
		.amdhsa_memory_ordered 1
		.amdhsa_forward_progress 0
		.amdhsa_shared_vgpr_count 0
		.amdhsa_exception_fp_ieee_invalid_op 0
		.amdhsa_exception_fp_denorm_src 0
		.amdhsa_exception_fp_ieee_div_zero 0
		.amdhsa_exception_fp_ieee_overflow 0
		.amdhsa_exception_fp_ieee_underflow 0
		.amdhsa_exception_fp_ieee_inexact 0
		.amdhsa_exception_int_div_zero 0
	.end_amdhsa_kernel
	.text
.Lfunc_end39:
	.size	batched_transpose_32x64_pack_2x4_ediv_1x2_half, .Lfunc_end39-batched_transpose_32x64_pack_2x4_ediv_1x2_half
                                        ; -- End function
	.section	.AMDGPU.csdata,"",@progbits
; Kernel info:
; codeLenInByte = 1088
; NumSgprs: 41
; NumVgprs: 22
; ScratchSize: 0
; MemoryBound: 0
; FloatMode: 240
; IeeeMode: 1
; LDSByteSize: 4352 bytes/workgroup (compile time only)
; SGPRBlocks: 5
; VGPRBlocks: 2
; NumSGPRsForWavesPerEU: 41
; NumVGPRsForWavesPerEU: 22
; Occupancy: 16
; WaveLimiterHint : 0
; COMPUTE_PGM_RSRC2:SCRATCH_EN: 0
; COMPUTE_PGM_RSRC2:USER_SGPR: 15
; COMPUTE_PGM_RSRC2:TRAP_HANDLER: 0
; COMPUTE_PGM_RSRC2:TGID_X_EN: 1
; COMPUTE_PGM_RSRC2:TGID_Y_EN: 0
; COMPUTE_PGM_RSRC2:TGID_Z_EN: 0
; COMPUTE_PGM_RSRC2:TIDIG_COMP_CNT: 0
	.text
	.protected	batched_transpose_16x64_pack_1x4_ediv_1x2_half ; -- Begin function batched_transpose_16x64_pack_1x4_ediv_1x2_half
	.globl	batched_transpose_16x64_pack_1x4_ediv_1x2_half
	.p2align	8
	.type	batched_transpose_16x64_pack_1x4_ediv_1x2_half,@function
batched_transpose_16x64_pack_1x4_ediv_1x2_half: ; @batched_transpose_16x64_pack_1x4_ediv_1x2_half
; %bb.0:
	s_load_b256 s[4:11], s[0:1], 0x10
	s_waitcnt lgkmcnt(0)
	s_cmp_ge_u32 s15, s7
	s_cbranch_scc1 .LBB40_11
; %bb.1:
	s_load_b128 s[16:19], s[0:1], 0x0
	v_and_b32_e32 v5, 15, v0
	v_lshrrev_b32_e32 v6, 4, v0
	s_add_i32 s0, s4, 63
	s_lshr_b32 s1, s4, 1
	s_add_i32 s12, s5, 15
	v_mul_u32_u24_e32 v0, 17, v5
	v_mul_u32_u24_e32 v1, 17, v6
	s_mov_b32 s3, 0
	s_lshl_b32 s22, s5, 5
	s_lshr_b32 s14, s0, 6
	v_lshlrev_b32_e32 v7, 1, v6
	v_add_lshl_u32 v8, v0, v6, 2
	v_add_lshl_u32 v9, v1, v5, 2
	v_mov_b32_e32 v1, 0
	s_mov_b32 s2, s5
	s_mul_i32 s20, s5, 33
	s_mov_b32 s23, s3
	s_mov_b32 s21, s3
                                        ; implicit-def: $vgpr13
                                        ; implicit-def: $vgpr12
                                        ; implicit-def: $vgpr10
                                        ; implicit-def: $vgpr11
	s_waitcnt lgkmcnt(0)
	s_add_u32 s24, s16, 64
	s_addc_u32 s25, s17, 0
	s_and_b32 s0, s12, -16
	s_lshl_b32 s26, s15, 4
	s_lshl_b32 s27, s6, 4
	s_sub_i32 s28, 0, s0
	s_lshl_b64 s[12:13], s[2:3], 1
	s_lshl_b64 s[20:21], s[20:21], 1
	;; [unrolled: 1-line block ×3, first 2 shown]
	s_branch .LBB40_3
.LBB40_2:                               ;   in Loop: Header=BB40_3 Depth=1
	s_or_b32 exec_lo, exec_lo, s0
	s_add_i32 s15, s15, s6
	s_add_i32 s26, s26, s27
	s_cmp_lt_u32 s15, s7
	s_cbranch_scc0 .LBB40_11
.LBB40_3:                               ; =>This Inner Loop Header: Depth=1
	s_mul_hi_u32 s0, s10, s15
	v_mov_b32_e32 v15, v1
	s_add_i32 s0, s15, s0
	s_delay_alu instid0(SALU_CYCLE_1)
	s_lshr_b32 s0, s0, s11
	s_waitcnt lgkmcnt(0)
	s_waitcnt_vscnt null, 0x0
	s_barrier
	s_mul_hi_u32 s3, s0, s8
	s_mul_i32 s30, s28, s0
	s_add_i32 s3, s0, s3
	v_add3_u32 v14, s30, s26, v5
	s_lshr_b32 s3, s3, s9
	buffer_gl0_inv
	s_mul_i32 s29, s3, s14
	v_cmp_gt_u32_e32 vcc_lo, s5, v14
	s_sub_i32 s29, s0, s29
	s_delay_alu instid0(SALU_CYCLE_1) | instskip(NEXT) | instid1(VALU_DEP_1)
	v_lshl_or_b32 v0, s29, 6, v7
	v_mad_u64_u32 v[2:3], null, s3, s4, v[0:1]
	v_cmp_gt_u32_e64 s0, s4, v0
	s_delay_alu instid0(VALU_DEP_1) | instskip(NEXT) | instid1(VALU_DEP_2)
	s_and_b32 s0, s0, vcc_lo
	v_mad_u64_u32 v[16:17], null, v2, s2, v[14:15]
	s_delay_alu instid0(VALU_DEP_1) | instskip(NEXT) | instid1(VALU_DEP_1)
	v_mov_b32_e32 v2, v17
	v_mad_u64_u32 v[17:18], null, v3, s2, v[2:3]
	s_delay_alu instid0(VALU_DEP_1)
	v_lshlrev_b64 v[2:3], 1, v[16:17]
	s_and_saveexec_b32 s31, s0
; %bb.4:                                ;   in Loop: Header=BB40_3 Depth=1
	s_delay_alu instid0(VALU_DEP_1) | instskip(NEXT) | instid1(VALU_DEP_1)
	v_add_co_u32 v10, s0, s18, v2
	v_add_co_ci_u32_e64 v11, s0, s19, v3, s0
	s_delay_alu instid0(VALU_DEP_2) | instskip(NEXT) | instid1(VALU_DEP_1)
	v_add_co_u32 v14, s0, v10, s12
	v_add_co_ci_u32_e64 v15, s0, s13, v11, s0
	s_clause 0x1
	global_load_u16 v11, v[10:11], off
	global_load_u16 v10, v[14:15], off
; %bb.5:                                ;   in Loop: Header=BB40_3 Depth=1
	s_or_b32 exec_lo, exec_lo, s31
	v_add_nc_u32_e32 v0, 32, v0
	s_delay_alu instid0(VALU_DEP_1) | instskip(NEXT) | instid1(VALU_DEP_1)
	v_cmp_gt_u32_e64 s0, s4, v0
	s_and_b32 s31, s0, vcc_lo
	s_delay_alu instid0(SALU_CYCLE_1)
	s_and_saveexec_b32 s0, s31
; %bb.6:                                ;   in Loop: Header=BB40_3 Depth=1
	v_add_co_u32 v0, vcc_lo, s18, v2
	v_add_co_ci_u32_e32 v4, vcc_lo, s19, v3, vcc_lo
	s_delay_alu instid0(VALU_DEP_2) | instskip(NEXT) | instid1(VALU_DEP_2)
	v_add_co_u32 v2, vcc_lo, v0, s22
	v_add_co_ci_u32_e32 v3, vcc_lo, s23, v4, vcc_lo
	v_add_co_u32 v13, vcc_lo, v0, s20
	v_add_co_ci_u32_e32 v14, vcc_lo, s21, v4, vcc_lo
	s_clause 0x1
	global_load_u16 v12, v[2:3], off
	global_load_u16 v13, v[13:14], off
; %bb.7:                                ;   in Loop: Header=BB40_3 Depth=1
	s_or_b32 exec_lo, exec_lo, s0
	v_add3_u32 v0, s30, s26, v6
	v_lshl_or_b32 v2, s29, 5, v5
	v_mov_b32_e32 v3, v1
	s_waitcnt vmcnt(0)
	v_perm_b32 v4, v10, v11, 0x5040100
	v_mad_u64_u32 v[14:15], null, s3, s2, v[0:1]
	v_cmp_gt_u32_e64 s0, s1, v2
	v_cmp_gt_u32_e32 vcc_lo, s5, v0
	s_delay_alu instid0(VALU_DEP_2) | instskip(NEXT) | instid1(VALU_DEP_3)
	s_and_b32 s0, vcc_lo, s0
	v_mad_u64_u32 v[16:17], null, v14, s1, v[2:3]
	v_perm_b32 v3, v13, v12, 0x5040100
	ds_store_b32 v8, v4
	ds_store_b32 v8, v3 offset:1088
	s_waitcnt lgkmcnt(0)
	s_barrier
	buffer_gl0_inv
	ds_load_b32 v14, v9 offset:1088
	v_mov_b32_e32 v3, v17
	s_delay_alu instid0(VALU_DEP_1) | instskip(NEXT) | instid1(VALU_DEP_1)
	v_mad_u64_u32 v[17:18], null, v15, s1, v[3:4]
	v_lshlrev_b64 v[3:4], 2, v[16:17]
	s_and_saveexec_b32 s3, s0
	s_cbranch_execz .LBB40_9
; %bb.8:                                ;   in Loop: Header=BB40_3 Depth=1
	ds_load_b32 v0, v9
	v_add_co_u32 v15, s0, s16, v3
	s_delay_alu instid0(VALU_DEP_1)
	v_add_co_ci_u32_e64 v16, s0, s17, v4, s0
	s_waitcnt lgkmcnt(0)
	global_store_b32 v[15:16], v0, off
.LBB40_9:                               ;   in Loop: Header=BB40_3 Depth=1
	s_or_b32 exec_lo, exec_lo, s3
	v_or_b32_e32 v0, 16, v2
	s_delay_alu instid0(VALU_DEP_1) | instskip(NEXT) | instid1(VALU_DEP_1)
	v_cmp_gt_u32_e64 s0, s1, v0
	s_and_b32 s3, vcc_lo, s0
	s_delay_alu instid0(SALU_CYCLE_1)
	s_and_saveexec_b32 s0, s3
	s_cbranch_execz .LBB40_2
; %bb.10:                               ;   in Loop: Header=BB40_3 Depth=1
	v_add_co_u32 v2, vcc_lo, s24, v3
	v_add_co_ci_u32_e32 v3, vcc_lo, s25, v4, vcc_lo
	s_waitcnt lgkmcnt(0)
	global_store_b32 v[2:3], v14, off
	s_branch .LBB40_2
.LBB40_11:
	s_nop 0
	s_sendmsg sendmsg(MSG_DEALLOC_VGPRS)
	s_endpgm
	.section	.rodata,"a",@progbits
	.p2align	6, 0x0
	.amdhsa_kernel batched_transpose_16x64_pack_1x4_ediv_1x2_half
		.amdhsa_group_segment_fixed_size 2176
		.amdhsa_private_segment_fixed_size 0
		.amdhsa_kernarg_size 48
		.amdhsa_user_sgpr_count 15
		.amdhsa_user_sgpr_dispatch_ptr 0
		.amdhsa_user_sgpr_queue_ptr 0
		.amdhsa_user_sgpr_kernarg_segment_ptr 1
		.amdhsa_user_sgpr_dispatch_id 0
		.amdhsa_user_sgpr_private_segment_size 0
		.amdhsa_wavefront_size32 1
		.amdhsa_uses_dynamic_stack 0
		.amdhsa_enable_private_segment 0
		.amdhsa_system_sgpr_workgroup_id_x 1
		.amdhsa_system_sgpr_workgroup_id_y 0
		.amdhsa_system_sgpr_workgroup_id_z 0
		.amdhsa_system_sgpr_workgroup_info 0
		.amdhsa_system_vgpr_workitem_id 0
		.amdhsa_next_free_vgpr 19
		.amdhsa_next_free_sgpr 32
		.amdhsa_reserve_vcc 1
		.amdhsa_float_round_mode_32 0
		.amdhsa_float_round_mode_16_64 0
		.amdhsa_float_denorm_mode_32 3
		.amdhsa_float_denorm_mode_16_64 3
		.amdhsa_dx10_clamp 1
		.amdhsa_ieee_mode 1
		.amdhsa_fp16_overflow 0
		.amdhsa_workgroup_processor_mode 1
		.amdhsa_memory_ordered 1
		.amdhsa_forward_progress 0
		.amdhsa_shared_vgpr_count 0
		.amdhsa_exception_fp_ieee_invalid_op 0
		.amdhsa_exception_fp_denorm_src 0
		.amdhsa_exception_fp_ieee_div_zero 0
		.amdhsa_exception_fp_ieee_overflow 0
		.amdhsa_exception_fp_ieee_underflow 0
		.amdhsa_exception_fp_ieee_inexact 0
		.amdhsa_exception_int_div_zero 0
	.end_amdhsa_kernel
	.text
.Lfunc_end40:
	.size	batched_transpose_16x64_pack_1x4_ediv_1x2_half, .Lfunc_end40-batched_transpose_16x64_pack_1x4_ediv_1x2_half
                                        ; -- End function
	.section	.AMDGPU.csdata,"",@progbits
; Kernel info:
; codeLenInByte = 752
; NumSgprs: 34
; NumVgprs: 19
; ScratchSize: 0
; MemoryBound: 0
; FloatMode: 240
; IeeeMode: 1
; LDSByteSize: 2176 bytes/workgroup (compile time only)
; SGPRBlocks: 4
; VGPRBlocks: 2
; NumSGPRsForWavesPerEU: 34
; NumVGPRsForWavesPerEU: 19
; Occupancy: 16
; WaveLimiterHint : 0
; COMPUTE_PGM_RSRC2:SCRATCH_EN: 0
; COMPUTE_PGM_RSRC2:USER_SGPR: 15
; COMPUTE_PGM_RSRC2:TRAP_HANDLER: 0
; COMPUTE_PGM_RSRC2:TGID_X_EN: 1
; COMPUTE_PGM_RSRC2:TGID_Y_EN: 0
; COMPUTE_PGM_RSRC2:TGID_Z_EN: 0
; COMPUTE_PGM_RSRC2:TIDIG_COMP_CNT: 0
	.text
	.protected	batched_transpose_64x16_pack_4x1_ediv_2x1_half ; -- Begin function batched_transpose_64x16_pack_4x1_ediv_2x1_half
	.globl	batched_transpose_64x16_pack_4x1_ediv_2x1_half
	.p2align	8
	.type	batched_transpose_64x16_pack_4x1_ediv_2x1_half,@function
batched_transpose_64x16_pack_4x1_ediv_2x1_half: ; @batched_transpose_64x16_pack_4x1_ediv_2x1_half
; %bb.0:
	s_load_b256 s[4:11], s[0:1], 0x10
	s_waitcnt lgkmcnt(0)
	s_cmp_ge_u32 s15, s7
	s_cbranch_scc1 .LBB41_11
; %bb.1:
	s_load_b128 s[16:19], s[0:1], 0x0
	v_and_b32_e32 v7, 15, v0
	v_lshrrev_b32_e32 v8, 4, v0
	s_add_i32 s0, s4, 15
	s_lshr_b32 s1, s5, 1
	s_add_i32 s12, s5, 63
	v_mul_u32_u24_e32 v0, 17, v7
	v_mul_u32_u24_e32 v1, 17, v8
	v_dual_mov_b32 v3, 0 :: v_dual_lshlrev_b32 v2, 1, v8
	s_lshl_b32 s22, s4, 5
	s_lshr_b32 s24, s0, 4
	s_mov_b32 s3, 0
	v_add_lshl_u32 v9, v0, v8, 2
	v_add_lshl_u32 v10, v1, v7, 2
	v_lshl_or_b32 v0, s15, 6, v2
	v_lshl_or_b32 v1, s15, 5, v7
	s_mov_b32 s2, s4
	s_mul_i32 s20, s4, 33
	s_mov_b32 s23, s3
	s_waitcnt lgkmcnt(0)
	s_add_u32 s25, s18, 64
	s_addc_u32 s26, s19, 0
	s_and_b32 s0, s12, 0xffffffc0
	s_lshr_b32 s12, s12, 1
	s_mov_b32 s21, s3
	s_sub_i32 s27, 0, s0
	s_and_b32 s0, s12, 0x7fffffe0
	s_mov_b32 s14, s5
	s_lshl_b32 s28, s6, 6
	s_sub_i32 s29, 0, s0
	s_lshl_b32 s30, s6, 5
	s_lshl_b64 s[12:13], s[2:3], 1
	s_lshl_b64 s[20:21], s[20:21], 1
	;; [unrolled: 1-line block ×3, first 2 shown]
                                        ; implicit-def: $vgpr11
                                        ; implicit-def: $vgpr12
	s_branch .LBB41_3
.LBB41_2:                               ;   in Loop: Header=BB41_3 Depth=1
	s_or_b32 exec_lo, exec_lo, s0
	v_add_nc_u32_e32 v0, s28, v0
	v_add_nc_u32_e32 v1, s30, v1
	s_add_i32 s15, s15, s6
	s_delay_alu instid0(SALU_CYCLE_1)
	s_cmp_lt_u32 s15, s7
	s_cbranch_scc0 .LBB41_11
.LBB41_3:                               ; =>This Inner Loop Header: Depth=1
	s_mul_hi_u32 s0, s10, s15
	s_delay_alu instid0(SALU_CYCLE_1)
	s_add_i32 s0, s15, s0
	s_waitcnt lgkmcnt(0)
	s_waitcnt_vscnt null, 0x0
	s_barrier
	s_lshr_b32 s3, s0, s11
	buffer_gl0_inv
	s_mul_hi_u32 s0, s3, s8
	s_delay_alu instid0(SALU_CYCLE_1) | instskip(NEXT) | instid1(SALU_CYCLE_1)
	s_add_i32 s0, s3, s0
	s_lshr_b32 s31, s0, s9
	s_delay_alu instid0(SALU_CYCLE_1) | instskip(NEXT) | instid1(SALU_CYCLE_1)
	s_mul_i32 s0, s31, s24
	s_sub_i32 s0, s3, s0
	s_delay_alu instid0(SALU_CYCLE_1) | instskip(NEXT) | instid1(SALU_CYCLE_1)
	s_lshl_b32 s33, s0, 4
	v_or_b32_e32 v2, s33, v8
	s_delay_alu instid0(VALU_DEP_1) | instskip(SKIP_3) | instid1(VALU_DEP_4)
	v_mad_u64_u32 v[4:5], null, s29, s3, v[1:2]
	v_mad_u64_u32 v[13:14], null, s31, s2, v[2:3]
	v_mov_b32_e32 v5, v3
	v_cmp_gt_u32_e32 vcc_lo, s4, v2
	v_cmp_gt_u32_e64 s0, s1, v4
	s_delay_alu instid0(VALU_DEP_3) | instskip(NEXT) | instid1(VALU_DEP_2)
	v_mad_u64_u32 v[15:16], null, v13, s1, v[4:5]
	s_and_b32 s0, vcc_lo, s0
	s_delay_alu instid0(VALU_DEP_1) | instskip(NEXT) | instid1(VALU_DEP_1)
	v_mov_b32_e32 v5, v16
	v_mad_u64_u32 v[16:17], null, v14, s1, v[5:6]
	s_delay_alu instid0(VALU_DEP_1)
	v_lshlrev_b64 v[5:6], 2, v[15:16]
	s_and_saveexec_b32 s34, s0
	s_cbranch_execz .LBB41_5
; %bb.4:                                ;   in Loop: Header=BB41_3 Depth=1
	s_delay_alu instid0(VALU_DEP_1) | instskip(NEXT) | instid1(VALU_DEP_1)
	v_add_co_u32 v12, s0, s18, v5
	v_add_co_ci_u32_e64 v13, s0, s19, v6, s0
	global_load_b32 v12, v[12:13], off
.LBB41_5:                               ;   in Loop: Header=BB41_3 Depth=1
	s_or_b32 exec_lo, exec_lo, s34
	v_add_nc_u32_e32 v2, 16, v4
	s_delay_alu instid0(VALU_DEP_1) | instskip(NEXT) | instid1(VALU_DEP_1)
	v_cmp_gt_u32_e64 s0, s1, v2
	s_and_b32 s34, vcc_lo, s0
	s_delay_alu instid0(SALU_CYCLE_1)
	s_and_saveexec_b32 s0, s34
	s_cbranch_execz .LBB41_7
; %bb.6:                                ;   in Loop: Header=BB41_3 Depth=1
	v_add_co_u32 v4, vcc_lo, s25, v5
	v_add_co_ci_u32_e32 v5, vcc_lo, s26, v6, vcc_lo
	global_load_b32 v11, v[4:5], off
.LBB41_7:                               ;   in Loop: Header=BB41_3 Depth=1
	s_or_b32 exec_lo, exec_lo, s0
	v_mad_u64_u32 v[4:5], null, s27, s3, v[0:1]
	v_mov_b32_e32 v5, v3
	v_or_b32_e32 v2, s33, v7
	s_waitcnt vmcnt(0)
	ds_store_b32 v9, v12
	ds_store_b32 v9, v11 offset:1088
	s_waitcnt lgkmcnt(0)
	s_barrier
	buffer_gl0_inv
	v_mad_u64_u32 v[13:14], null, s31, s14, v[4:5]
	v_cmp_gt_u32_e32 vcc_lo, s4, v2
	v_cmp_gt_u32_e64 s0, s5, v4
	s_delay_alu instid0(VALU_DEP_1) | instskip(NEXT) | instid1(VALU_DEP_3)
	s_and_b32 s0, vcc_lo, s0
	v_mad_u64_u32 v[5:6], null, v13, s2, v[2:3]
	ds_load_b32 v13, v10 offset:1088
	v_mad_u64_u32 v[15:16], null, v14, s2, v[6:7]
	s_delay_alu instid0(VALU_DEP_1) | instskip(NEXT) | instid1(VALU_DEP_1)
	v_mov_b32_e32 v6, v15
	v_lshlrev_b64 v[5:6], 1, v[5:6]
	s_and_saveexec_b32 s3, s0
	s_cbranch_execz .LBB41_9
; %bb.8:                                ;   in Loop: Header=BB41_3 Depth=1
	ds_load_b32 v2, v10
	v_add_co_u32 v14, s0, s16, v5
	s_delay_alu instid0(VALU_DEP_1) | instskip(NEXT) | instid1(VALU_DEP_2)
	v_add_co_ci_u32_e64 v15, s0, s17, v6, s0
	v_add_co_u32 v16, s0, v14, s12
	s_delay_alu instid0(VALU_DEP_1)
	v_add_co_ci_u32_e64 v17, s0, s13, v15, s0
	s_waitcnt lgkmcnt(0)
	s_clause 0x1
	global_store_b16 v[14:15], v2, off
	global_store_d16_hi_b16 v[16:17], v2, off
.LBB41_9:                               ;   in Loop: Header=BB41_3 Depth=1
	s_or_b32 exec_lo, exec_lo, s3
	v_add_nc_u32_e32 v2, 32, v4
	s_delay_alu instid0(VALU_DEP_1) | instskip(NEXT) | instid1(VALU_DEP_1)
	v_cmp_gt_u32_e64 s0, s5, v2
	s_and_b32 s3, vcc_lo, s0
	s_delay_alu instid0(SALU_CYCLE_1)
	s_and_saveexec_b32 s0, s3
	s_cbranch_execz .LBB41_2
; %bb.10:                               ;   in Loop: Header=BB41_3 Depth=1
	v_add_co_u32 v2, vcc_lo, s16, v5
	v_add_co_ci_u32_e32 v6, vcc_lo, s17, v6, vcc_lo
	s_delay_alu instid0(VALU_DEP_2) | instskip(NEXT) | instid1(VALU_DEP_2)
	v_add_co_u32 v4, vcc_lo, v2, s22
	v_add_co_ci_u32_e32 v5, vcc_lo, s23, v6, vcc_lo
	v_add_co_u32 v14, vcc_lo, v2, s20
	v_add_co_ci_u32_e32 v15, vcc_lo, s21, v6, vcc_lo
	s_waitcnt lgkmcnt(0)
	s_clause 0x1
	global_store_b16 v[4:5], v13, off
	global_store_d16_hi_b16 v[14:15], v13, off
	s_branch .LBB41_2
.LBB41_11:
	s_nop 0
	s_sendmsg sendmsg(MSG_DEALLOC_VGPRS)
	s_endpgm
	.section	.rodata,"a",@progbits
	.p2align	6, 0x0
	.amdhsa_kernel batched_transpose_64x16_pack_4x1_ediv_2x1_half
		.amdhsa_group_segment_fixed_size 2176
		.amdhsa_private_segment_fixed_size 0
		.amdhsa_kernarg_size 48
		.amdhsa_user_sgpr_count 15
		.amdhsa_user_sgpr_dispatch_ptr 0
		.amdhsa_user_sgpr_queue_ptr 0
		.amdhsa_user_sgpr_kernarg_segment_ptr 1
		.amdhsa_user_sgpr_dispatch_id 0
		.amdhsa_user_sgpr_private_segment_size 0
		.amdhsa_wavefront_size32 1
		.amdhsa_uses_dynamic_stack 0
		.amdhsa_enable_private_segment 0
		.amdhsa_system_sgpr_workgroup_id_x 1
		.amdhsa_system_sgpr_workgroup_id_y 0
		.amdhsa_system_sgpr_workgroup_id_z 0
		.amdhsa_system_sgpr_workgroup_info 0
		.amdhsa_system_vgpr_workitem_id 0
		.amdhsa_next_free_vgpr 18
		.amdhsa_next_free_sgpr 35
		.amdhsa_reserve_vcc 1
		.amdhsa_float_round_mode_32 0
		.amdhsa_float_round_mode_16_64 0
		.amdhsa_float_denorm_mode_32 3
		.amdhsa_float_denorm_mode_16_64 3
		.amdhsa_dx10_clamp 1
		.amdhsa_ieee_mode 1
		.amdhsa_fp16_overflow 0
		.amdhsa_workgroup_processor_mode 1
		.amdhsa_memory_ordered 1
		.amdhsa_forward_progress 0
		.amdhsa_shared_vgpr_count 0
		.amdhsa_exception_fp_ieee_invalid_op 0
		.amdhsa_exception_fp_denorm_src 0
		.amdhsa_exception_fp_ieee_div_zero 0
		.amdhsa_exception_fp_ieee_overflow 0
		.amdhsa_exception_fp_ieee_underflow 0
		.amdhsa_exception_fp_ieee_inexact 0
		.amdhsa_exception_int_div_zero 0
	.end_amdhsa_kernel
	.text
.Lfunc_end41:
	.size	batched_transpose_64x16_pack_4x1_ediv_2x1_half, .Lfunc_end41-batched_transpose_64x16_pack_4x1_ediv_2x1_half
                                        ; -- End function
	.section	.AMDGPU.csdata,"",@progbits
; Kernel info:
; codeLenInByte = 788
; NumSgprs: 37
; NumVgprs: 18
; ScratchSize: 0
; MemoryBound: 0
; FloatMode: 240
; IeeeMode: 1
; LDSByteSize: 2176 bytes/workgroup (compile time only)
; SGPRBlocks: 4
; VGPRBlocks: 2
; NumSGPRsForWavesPerEU: 37
; NumVGPRsForWavesPerEU: 18
; Occupancy: 16
; WaveLimiterHint : 0
; COMPUTE_PGM_RSRC2:SCRATCH_EN: 0
; COMPUTE_PGM_RSRC2:USER_SGPR: 15
; COMPUTE_PGM_RSRC2:TRAP_HANDLER: 0
; COMPUTE_PGM_RSRC2:TGID_X_EN: 1
; COMPUTE_PGM_RSRC2:TGID_Y_EN: 0
; COMPUTE_PGM_RSRC2:TGID_Z_EN: 0
; COMPUTE_PGM_RSRC2:TIDIG_COMP_CNT: 0
	.text
	.protected	batched_transpose_64x64_pack_4x4_ediv_4x4_half ; -- Begin function batched_transpose_64x64_pack_4x4_ediv_4x4_half
	.globl	batched_transpose_64x64_pack_4x4_ediv_4x4_half
	.p2align	8
	.type	batched_transpose_64x64_pack_4x4_ediv_4x4_half,@function
batched_transpose_64x64_pack_4x4_ediv_4x4_half: ; @batched_transpose_64x64_pack_4x4_ediv_4x4_half
; %bb.0:
	s_load_b256 s[4:11], s[0:1], 0x10
	s_waitcnt lgkmcnt(0)
	s_cmp_ge_u32 s15, s7
	s_cbranch_scc1 .LBB42_7
; %bb.1:
	s_load_b128 s[16:19], s[0:1], 0x0
	v_lshrrev_b32_e32 v1, 4, v0
	v_and_b32_e32 v13, 15, v0
	s_add_i32 s0, s4, 63
	s_lshr_b32 s2, s4, 2
	s_lshr_b32 s1, s0, 6
	v_mul_u32_u24_e32 v2, 17, v1
	v_lshlrev_b32_e32 v14, 2, v1
	s_add_i32 s0, s5, 63
	s_lshr_b32 s12, s5, 2
	s_mov_b32 s13, 0
	v_add_lshl_u32 v16, v2, v13, 4
	v_mov_b32_e32 v2, 0
	v_mul_u32_u24_e32 v0, 17, v13
	s_and_b32 s20, s0, 0xffffffc0
	s_lshr_b32 s0, s0, 2
	v_lshl_or_b32 v17, s15, 4, v13
	s_lshl_b32 s22, s12, 1
	v_add_lshl_u32 v15, v0, v1, 4
	v_lshl_or_b32 v0, s15, 6, v14
	s_mov_b32 s23, s13
	s_mul_i32 s24, s12, 3
	s_mov_b32 s25, s13
	s_mov_b32 s3, s13
	s_lshl_b32 s28, s2, 1
	s_mov_b32 s29, s13
	s_mul_i32 s30, s2, 3
	s_mov_b32 s31, s13
	s_and_b32 s0, s0, 0x3ffffff0
	s_mov_b32 s14, s5
	s_sub_i32 s33, 0, s20
	s_lshl_b32 s34, s6, 6
	s_sub_i32 s35, 0, s0
	s_lshl_b32 s36, s6, 4
	s_lshl_b64 s[20:21], s[12:13], 3
	s_lshl_b64 s[22:23], s[22:23], 3
	;; [unrolled: 1-line block ×6, first 2 shown]
                                        ; implicit-def: $vgpr9_vgpr10
                                        ; implicit-def: $vgpr3_vgpr4
                                        ; implicit-def: $vgpr5_vgpr6
                                        ; implicit-def: $vgpr7_vgpr8
	s_branch .LBB42_3
.LBB42_2:                               ;   in Loop: Header=BB42_3 Depth=1
	s_or_b32 exec_lo, exec_lo, s0
	v_add_nc_u32_e32 v0, s34, v0
	v_add_nc_u32_e32 v17, s36, v17
	s_add_i32 s15, s15, s6
	s_delay_alu instid0(SALU_CYCLE_1)
	s_cmp_lt_u32 s15, s7
	s_cbranch_scc0 .LBB42_7
.LBB42_3:                               ; =>This Inner Loop Header: Depth=1
	s_mul_hi_u32 s0, s10, s15
	s_waitcnt lgkmcnt(0)
	s_add_i32 s0, s15, s0
	s_waitcnt_vscnt null, 0x0
	s_barrier
	s_lshr_b32 s13, s0, s11
	buffer_gl0_inv
	s_mul_hi_u32 s0, s13, s8
	s_delay_alu instid0(SALU_CYCLE_1) | instskip(NEXT) | instid1(SALU_CYCLE_1)
	s_add_i32 s0, s13, s0
	s_lshr_b32 s3, s0, s9
	s_delay_alu instid0(SALU_CYCLE_1) | instskip(NEXT) | instid1(SALU_CYCLE_1)
	s_mul_i32 s0, s3, s1
	s_sub_i32 s37, s13, s0
	s_mul_i32 s0, s35, s13
	v_lshl_or_b32 v1, s37, 6, v14
	v_add_nc_u32_e32 v11, s0, v17
	s_delay_alu instid0(VALU_DEP_2) | instskip(NEXT) | instid1(VALU_DEP_2)
	v_cmp_gt_u32_e32 vcc_lo, s4, v1
	v_cmp_gt_u32_e64 s0, s12, v11
	s_delay_alu instid0(VALU_DEP_1) | instskip(NEXT) | instid1(SALU_CYCLE_1)
	s_and_b32 s38, vcc_lo, s0
	s_and_saveexec_b32 s0, s38
	s_cbranch_execz .LBB42_5
; %bb.4:                                ;   in Loop: Header=BB42_3 Depth=1
	v_mad_u64_u32 v[3:4], null, s3, s4, v[1:2]
	v_mov_b32_e32 v12, v2
	s_delay_alu instid0(VALU_DEP_2) | instskip(NEXT) | instid1(VALU_DEP_1)
	v_mad_u64_u32 v[5:6], null, v3, s12, 0
	v_mov_b32_e32 v1, v6
	s_delay_alu instid0(VALU_DEP_1) | instskip(NEXT) | instid1(VALU_DEP_1)
	v_mad_u64_u32 v[6:7], null, v4, s12, v[1:2]
	v_lshlrev_b64 v[3:4], 3, v[5:6]
	v_lshlrev_b64 v[5:6], 3, v[11:12]
	s_delay_alu instid0(VALU_DEP_2) | instskip(NEXT) | instid1(VALU_DEP_3)
	v_add_co_u32 v1, vcc_lo, s18, v3
	v_add_co_ci_u32_e32 v4, vcc_lo, s19, v4, vcc_lo
	s_delay_alu instid0(VALU_DEP_2) | instskip(NEXT) | instid1(VALU_DEP_2)
	v_add_co_u32 v3, vcc_lo, v1, v5
	v_add_co_ci_u32_e32 v4, vcc_lo, v4, v6, vcc_lo
	s_delay_alu instid0(VALU_DEP_2) | instskip(NEXT) | instid1(VALU_DEP_2)
	v_add_co_u32 v5, vcc_lo, v3, s20
	v_add_co_ci_u32_e32 v6, vcc_lo, s21, v4, vcc_lo
	v_add_co_u32 v9, vcc_lo, v3, s22
	v_add_co_ci_u32_e32 v10, vcc_lo, s23, v4, vcc_lo
	;; [unrolled: 2-line block ×3, first 2 shown]
	s_clause 0x3
	global_load_b64 v[7:8], v[3:4], off
	global_load_b64 v[5:6], v[5:6], off
	;; [unrolled: 1-line block ×4, first 2 shown]
.LBB42_5:                               ;   in Loop: Header=BB42_3 Depth=1
	s_or_b32 exec_lo, exec_lo, s0
	s_waitcnt vmcnt(3)
	v_and_b32_e32 v1, 0xffff, v7
	v_lshrrev_b32_e32 v11, 16, v7
	v_and_b32_e32 v12, 0xffff, v8
	s_waitcnt vmcnt(1)
	v_lshrrev_b32_e32 v21, 16, v3
	v_and_b32_e32 v23, 0xffff, v4
	v_lshl_or_b32 v18, v5, 16, v1
	v_and_b32_e32 v1, 0xffff, v3
	v_and_or_b32 v20, 0xffff0000, v5, v11
	v_lshl_or_b32 v22, v6, 16, v12
	s_waitcnt vmcnt(0)
	v_and_or_b32 v21, 0xffff0000, v9, v21
	v_perm_b32 v24, v8, v6, 0x3020706
	v_mad_u64_u32 v[11:12], null, s33, s13, v[0:1]
	v_lshl_or_b32 v19, v9, 16, v1
	v_lshl_or_b32 v1, s37, 4, v13
	v_lshl_or_b32 v23, v10, 16, v23
	v_perm_b32 v25, v4, v10, 0x3020706
	ds_store_b128 v15, v[18:21]
	ds_store_b128 v15, v[22:25] offset:4352
	v_cmp_gt_u32_e32 vcc_lo, s2, v1
	v_cmp_gt_u32_e64 s0, s5, v11
	s_waitcnt lgkmcnt(0)
	s_barrier
	buffer_gl0_inv
	s_and_b32 s13, s0, vcc_lo
	s_delay_alu instid0(SALU_CYCLE_1)
	s_and_saveexec_b32 s0, s13
	s_cbranch_execz .LBB42_2
; %bb.6:                                ;   in Loop: Header=BB42_3 Depth=1
	v_mov_b32_e32 v12, v2
	v_lshlrev_b64 v[26:27], 3, v[1:2]
	ds_load_b128 v[22:25], v16 offset:4352
	v_mad_u64_u32 v[18:19], null, s3, s14, v[11:12]
	s_delay_alu instid0(VALU_DEP_1) | instskip(NEXT) | instid1(VALU_DEP_1)
	v_mad_u64_u32 v[11:12], null, v18, s2, 0
	v_mad_u64_u32 v[20:21], null, v19, s2, v[12:13]
	s_delay_alu instid0(VALU_DEP_1) | instskip(SKIP_2) | instid1(VALU_DEP_1)
	v_mov_b32_e32 v12, v20
	ds_load_b128 v[18:21], v16
	v_lshlrev_b64 v[11:12], 3, v[11:12]
	v_add_co_u32 v1, vcc_lo, s16, v11
	s_delay_alu instid0(VALU_DEP_2) | instskip(NEXT) | instid1(VALU_DEP_2)
	v_add_co_ci_u32_e32 v12, vcc_lo, s17, v12, vcc_lo
	v_add_co_u32 v11, vcc_lo, v1, v26
	s_delay_alu instid0(VALU_DEP_2) | instskip(NEXT) | instid1(VALU_DEP_2)
	v_add_co_ci_u32_e32 v12, vcc_lo, v12, v27, vcc_lo
	v_add_co_u32 v26, vcc_lo, v11, s26
	s_delay_alu instid0(VALU_DEP_2)
	v_add_co_ci_u32_e32 v27, vcc_lo, s27, v12, vcc_lo
	v_add_co_u32 v28, vcc_lo, v11, s28
	v_add_co_ci_u32_e32 v29, vcc_lo, s29, v12, vcc_lo
	v_add_co_u32 v30, vcc_lo, v11, s30
	v_add_co_ci_u32_e32 v31, vcc_lo, s31, v12, vcc_lo
	s_waitcnt lgkmcnt(0)
	s_clause 0x3
	global_store_b64 v[11:12], v[18:19], off
	global_store_b64 v[26:27], v[20:21], off
	;; [unrolled: 1-line block ×4, first 2 shown]
	s_branch .LBB42_2
.LBB42_7:
	s_nop 0
	s_sendmsg sendmsg(MSG_DEALLOC_VGPRS)
	s_endpgm
	.section	.rodata,"a",@progbits
	.p2align	6, 0x0
	.amdhsa_kernel batched_transpose_64x64_pack_4x4_ediv_4x4_half
		.amdhsa_group_segment_fixed_size 8704
		.amdhsa_private_segment_fixed_size 0
		.amdhsa_kernarg_size 48
		.amdhsa_user_sgpr_count 15
		.amdhsa_user_sgpr_dispatch_ptr 0
		.amdhsa_user_sgpr_queue_ptr 0
		.amdhsa_user_sgpr_kernarg_segment_ptr 1
		.amdhsa_user_sgpr_dispatch_id 0
		.amdhsa_user_sgpr_private_segment_size 0
		.amdhsa_wavefront_size32 1
		.amdhsa_uses_dynamic_stack 0
		.amdhsa_enable_private_segment 0
		.amdhsa_system_sgpr_workgroup_id_x 1
		.amdhsa_system_sgpr_workgroup_id_y 0
		.amdhsa_system_sgpr_workgroup_id_z 0
		.amdhsa_system_sgpr_workgroup_info 0
		.amdhsa_system_vgpr_workitem_id 0
		.amdhsa_next_free_vgpr 32
		.amdhsa_next_free_sgpr 39
		.amdhsa_reserve_vcc 1
		.amdhsa_float_round_mode_32 0
		.amdhsa_float_round_mode_16_64 0
		.amdhsa_float_denorm_mode_32 3
		.amdhsa_float_denorm_mode_16_64 3
		.amdhsa_dx10_clamp 1
		.amdhsa_ieee_mode 1
		.amdhsa_fp16_overflow 0
		.amdhsa_workgroup_processor_mode 1
		.amdhsa_memory_ordered 1
		.amdhsa_forward_progress 0
		.amdhsa_shared_vgpr_count 0
		.amdhsa_exception_fp_ieee_invalid_op 0
		.amdhsa_exception_fp_denorm_src 0
		.amdhsa_exception_fp_ieee_div_zero 0
		.amdhsa_exception_fp_ieee_overflow 0
		.amdhsa_exception_fp_ieee_underflow 0
		.amdhsa_exception_fp_ieee_inexact 0
		.amdhsa_exception_int_div_zero 0
	.end_amdhsa_kernel
	.text
.Lfunc_end42:
	.size	batched_transpose_64x64_pack_4x4_ediv_4x4_half, .Lfunc_end42-batched_transpose_64x64_pack_4x4_ediv_4x4_half
                                        ; -- End function
	.section	.AMDGPU.csdata,"",@progbits
; Kernel info:
; codeLenInByte = 924
; NumSgprs: 41
; NumVgprs: 32
; ScratchSize: 0
; MemoryBound: 0
; FloatMode: 240
; IeeeMode: 1
; LDSByteSize: 8704 bytes/workgroup (compile time only)
; SGPRBlocks: 5
; VGPRBlocks: 3
; NumSGPRsForWavesPerEU: 41
; NumVGPRsForWavesPerEU: 32
; Occupancy: 16
; WaveLimiterHint : 0
; COMPUTE_PGM_RSRC2:SCRATCH_EN: 0
; COMPUTE_PGM_RSRC2:USER_SGPR: 15
; COMPUTE_PGM_RSRC2:TRAP_HANDLER: 0
; COMPUTE_PGM_RSRC2:TGID_X_EN: 1
; COMPUTE_PGM_RSRC2:TGID_Y_EN: 0
; COMPUTE_PGM_RSRC2:TGID_Z_EN: 0
; COMPUTE_PGM_RSRC2:TIDIG_COMP_CNT: 0
	.text
	.protected	batched_transpose_64x64_pack_4x4_ediv_2x2_half ; -- Begin function batched_transpose_64x64_pack_4x4_ediv_2x2_half
	.globl	batched_transpose_64x64_pack_4x4_ediv_2x2_half
	.p2align	8
	.type	batched_transpose_64x64_pack_4x4_ediv_2x2_half,@function
batched_transpose_64x64_pack_4x4_ediv_2x2_half: ; @batched_transpose_64x64_pack_4x4_ediv_2x2_half
; %bb.0:
	s_load_b256 s[4:11], s[0:1], 0x10
	s_waitcnt lgkmcnt(0)
	s_cmp_ge_u32 s15, s7
	s_cbranch_scc1 .LBB43_19
; %bb.1:
	s_load_b128 s[16:19], s[0:1], 0x0
	v_lshrrev_b32_e32 v1, 4, v0
	v_and_b32_e32 v21, 15, v0
	s_add_i32 s20, s5, 63
	s_lshr_b32 s2, s4, 1
	s_lshr_b32 s12, s5, 1
	v_dual_mov_b32 v15, 0 :: v_dual_lshlrev_b32 v22, 1, v1
	v_mul_u32_u24_e32 v0, 17, v21
	v_mul_u32_u24_e32 v2, 17, v1
	s_add_i32 s0, s4, 63
	s_mov_b32 s13, 0
	s_and_b32 s21, s20, 0xffffffc0
	s_lshr_b32 s20, s20, 1
	v_add_lshl_u32 v23, v0, v1, 4
	v_add_lshl_u32 v24, v2, v21, 4
	v_lshl_or_b32 v12, s15, 6, v22
	v_lshl_or_b32 v13, s15, 5, v21
	s_lshr_b32 s14, s0, 6
	s_lshl_b32 s0, s12, 5
	s_mov_b32 s1, s13
	s_mul_i32 s22, s12, 33
	s_mov_b32 s23, s13
	s_mov_b32 s3, s13
	s_lshl_b32 s30, s2, 5
	s_mov_b32 s31, s13
	s_mul_i32 s28, s2, 33
	s_mov_b32 s29, s13
	s_and_b32 s20, s20, 0x7fffffe0
	s_mov_b32 s33, s5
	s_sub_i32 s34, 0, s21
	s_lshl_b32 s35, s6, 6
	s_sub_i32 s36, 0, s20
	s_lshl_b32 s37, s6, 5
	s_lshl_b64 s[20:21], s[12:13], 2
	s_lshl_b64 s[22:23], s[22:23], 2
	;; [unrolled: 1-line block ×6, first 2 shown]
                                        ; implicit-def: $vgpr0_vgpr1_vgpr2_vgpr3_vgpr4_vgpr5_vgpr6_vgpr7
	s_branch .LBB43_3
.LBB43_2:                               ;   in Loop: Header=BB43_3 Depth=1
	s_or_b32 exec_lo, exec_lo, s0
	v_add_nc_u32_e32 v12, s35, v12
	v_add_nc_u32_e32 v13, s37, v13
	s_add_i32 s15, s15, s6
	s_delay_alu instid0(SALU_CYCLE_1)
	s_cmp_lt_u32 s15, s7
	s_cbranch_scc0 .LBB43_19
.LBB43_3:                               ; =>This Inner Loop Header: Depth=1
	s_mul_hi_u32 s0, s10, s15
	s_waitcnt lgkmcnt(0)
	s_add_i32 s0, s15, s0
	s_waitcnt_vscnt null, 0x0
	s_barrier
	s_lshr_b32 s38, s0, s11
	buffer_gl0_inv
	s_mul_hi_u32 s0, s38, s8
	s_delay_alu instid0(SALU_CYCLE_1) | instskip(NEXT) | instid1(SALU_CYCLE_1)
	s_add_i32 s0, s38, s0
	s_lshr_b32 s13, s0, s9
	s_delay_alu instid0(SALU_CYCLE_1) | instskip(NEXT) | instid1(SALU_CYCLE_1)
	s_mul_i32 s0, s13, s14
	s_sub_i32 s3, s38, s0
	s_delay_alu instid0(SALU_CYCLE_1) | instskip(NEXT) | instid1(VALU_DEP_1)
	v_lshl_or_b32 v14, s3, 6, v22
	v_mad_u64_u32 v[10:11], null, s36, s38, v[13:14]
	v_mad_u64_u32 v[8:9], null, s13, s4, v[14:15]
	v_mov_b32_e32 v11, v15
	v_cmp_gt_u32_e64 s1, s4, v14
	s_delay_alu instid0(VALU_DEP_4) | instskip(NEXT) | instid1(VALU_DEP_3)
	v_cmp_gt_u32_e32 vcc_lo, s12, v10
	v_mad_u64_u32 v[16:17], null, v8, s12, v[10:11]
	s_delay_alu instid0(VALU_DEP_3) | instskip(NEXT) | instid1(VALU_DEP_1)
	s_and_b32 s0, s1, vcc_lo
	v_mov_b32_e32 v8, v17
	s_delay_alu instid0(VALU_DEP_1) | instskip(NEXT) | instid1(VALU_DEP_1)
	v_mad_u64_u32 v[17:18], null, v9, s12, v[8:9]
	v_lshlrev_b64 v[8:9], 2, v[16:17]
	s_and_saveexec_b32 s39, s0
; %bb.4:                                ;   in Loop: Header=BB43_3 Depth=1
	s_delay_alu instid0(VALU_DEP_1) | instskip(NEXT) | instid1(VALU_DEP_1)
	v_add_co_u32 v16, s0, s18, v8
	v_add_co_ci_u32_e64 v17, s0, s19, v9, s0
	s_delay_alu instid0(VALU_DEP_2) | instskip(NEXT) | instid1(VALU_DEP_1)
	v_add_co_u32 v18, s0, v16, s20
	v_add_co_ci_u32_e64 v19, s0, s21, v17, s0
	s_clause 0x1
	global_load_b32 v0, v[16:17], off
	global_load_b32 v2, v[18:19], off
; %bb.5:                                ;   in Loop: Header=BB43_3 Depth=1
	s_or_b32 exec_lo, exec_lo, s39
	v_add_nc_u32_e32 v10, 16, v10
	s_delay_alu instid0(VALU_DEP_1) | instskip(NEXT) | instid1(VALU_DEP_1)
	v_cmp_gt_u32_e64 s0, s12, v10
	s_and_b32 s1, s1, s0
	s_delay_alu instid0(SALU_CYCLE_1)
	s_and_saveexec_b32 s39, s1
; %bb.6:                                ;   in Loop: Header=BB43_3 Depth=1
	v_add_co_u32 v10, s1, s18, v8
	s_delay_alu instid0(VALU_DEP_1) | instskip(NEXT) | instid1(VALU_DEP_2)
	v_add_co_ci_u32_e64 v11, s1, s19, v9, s1
	v_add_co_u32 v16, s1, v10, s20
	s_delay_alu instid0(VALU_DEP_1)
	v_add_co_ci_u32_e64 v17, s1, s21, v11, s1
	s_clause 0x1
	global_load_b32 v1, v[10:11], off offset:64
	global_load_b32 v3, v[16:17], off offset:64
; %bb.7:                                ;   in Loop: Header=BB43_3 Depth=1
	s_or_b32 exec_lo, exec_lo, s39
	v_add_nc_u32_e32 v10, 32, v14
	s_delay_alu instid0(VALU_DEP_1) | instskip(NEXT) | instid1(VALU_DEP_1)
	v_cmp_gt_u32_e64 s1, s4, v10
	s_and_b32 s40, s1, vcc_lo
	s_delay_alu instid0(SALU_CYCLE_1)
	s_and_saveexec_b32 s39, s40
; %bb.8:                                ;   in Loop: Header=BB43_3 Depth=1
	v_add_co_u32 v4, vcc_lo, s18, v8
	v_add_co_ci_u32_e32 v6, vcc_lo, s19, v9, vcc_lo
	s_delay_alu instid0(VALU_DEP_2) | instskip(NEXT) | instid1(VALU_DEP_2)
	v_add_co_u32 v10, vcc_lo, v4, s24
	v_add_co_ci_u32_e32 v11, vcc_lo, s25, v6, vcc_lo
	v_add_co_u32 v16, vcc_lo, v4, s22
	v_add_co_ci_u32_e32 v17, vcc_lo, s23, v6, vcc_lo
	s_clause 0x1
	global_load_b32 v4, v[10:11], off
	global_load_b32 v6, v[16:17], off
; %bb.9:                                ;   in Loop: Header=BB43_3 Depth=1
	s_or_b32 exec_lo, exec_lo, s39
	s_and_b32 s1, s1, s0
	s_delay_alu instid0(SALU_CYCLE_1)
	s_and_saveexec_b32 s0, s1
; %bb.10:                               ;   in Loop: Header=BB43_3 Depth=1
	v_add_co_u32 v5, vcc_lo, s18, v8
	v_add_co_ci_u32_e32 v10, vcc_lo, s19, v9, vcc_lo
	s_delay_alu instid0(VALU_DEP_2) | instskip(NEXT) | instid1(VALU_DEP_2)
	v_add_co_u32 v7, vcc_lo, v5, s24
	v_add_co_ci_u32_e32 v8, vcc_lo, s25, v10, vcc_lo
	v_add_co_u32 v9, vcc_lo, v5, s22
	v_add_co_ci_u32_e32 v10, vcc_lo, s23, v10, vcc_lo
	s_clause 0x1
	global_load_b32 v5, v[7:8], off offset:64
	global_load_b32 v7, v[9:10], off offset:64
; %bb.11:                               ;   in Loop: Header=BB43_3 Depth=1
	s_or_b32 exec_lo, exec_lo, s0
	v_mad_u64_u32 v[16:17], null, s34, s38, v[12:13]
	s_waitcnt vmcnt(1)
	v_lshrrev_b32_e32 v9, 16, v0
	v_and_b32_e32 v11, 0xffff, v1
	v_dual_mov_b32 v17, v15 :: v_dual_and_b32 v8, 0xffff, v0
	v_lshrrev_b32_e32 v14, 16, v1
	s_waitcnt vmcnt(0)
	v_and_or_b32 v10, 0xffff0000, v2, v9
	v_lshl_or_b32 v25, v3, 16, v11
	v_and_b32_e32 v9, 0xffff, v4
	v_lshrrev_b32_e32 v11, 16, v4
	v_and_b32_e32 v18, 0xffff, v5
	v_mad_u64_u32 v[29:30], null, s13, s33, v[16:17]
	v_lshrrev_b32_e32 v17, 16, v5
	v_lshl_or_b32 v8, v2, 16, v8
	v_lshl_or_b32 v9, v6, 16, v9
	v_and_or_b32 v11, 0xffff0000, v6, v11
	v_and_or_b32 v27, 0xffff0000, v3, v14
	v_lshl_or_b32 v26, v7, 16, v18
	v_and_or_b32 v28, 0xffff0000, v7, v17
	ds_store_b128 v23, v[8:11]
	ds_store_b128 v23, v[25:28] offset:4352
	s_waitcnt lgkmcnt(0)
	s_barrier
	buffer_gl0_inv
	ds_load_2addr_b32 v[19:20], v24 offset0:1 offset1:3
	ds_load_b128 v[8:11], v24 offset:4352
	v_lshl_or_b32 v14, s3, 5, v21
	v_cmp_gt_u32_e64 s1, s5, v16
	s_delay_alu instid0(VALU_DEP_2) | instskip(SKIP_1) | instid1(VALU_DEP_3)
	v_mad_u64_u32 v[17:18], null, v29, s2, v[14:15]
	v_cmp_gt_u32_e32 vcc_lo, s2, v14
	s_and_b32 s0, vcc_lo, s1
	s_waitcnt lgkmcnt(1)
	s_delay_alu instid0(VALU_DEP_2) | instskip(NEXT) | instid1(VALU_DEP_1)
	v_mad_u64_u32 v[25:26], null, v30, s2, v[18:19]
	v_mov_b32_e32 v18, v25
	s_delay_alu instid0(VALU_DEP_1)
	v_lshlrev_b64 v[17:18], 2, v[17:18]
	s_and_saveexec_b32 s3, s0
	s_cbranch_execz .LBB43_13
; %bb.12:                               ;   in Loop: Header=BB43_3 Depth=1
	ds_load_2addr_b32 v[25:26], v24 offset1:2
	v_add_co_u32 v27, s0, s16, v17
	s_delay_alu instid0(VALU_DEP_1) | instskip(NEXT) | instid1(VALU_DEP_2)
	v_add_co_ci_u32_e64 v28, s0, s17, v18, s0
	v_add_co_u32 v29, s0, v27, s26
	s_delay_alu instid0(VALU_DEP_1)
	v_add_co_ci_u32_e64 v30, s0, s27, v28, s0
	s_waitcnt lgkmcnt(0)
	s_clause 0x1
	global_store_b32 v[27:28], v25, off
	global_store_b32 v[29:30], v26, off
.LBB43_13:                              ;   in Loop: Header=BB43_3 Depth=1
	s_or_b32 exec_lo, exec_lo, s3
	v_or_b32_e32 v14, 16, v14
	s_delay_alu instid0(VALU_DEP_1) | instskip(NEXT) | instid1(VALU_DEP_1)
	v_cmp_gt_u32_e64 s0, s2, v14
	s_and_b32 s1, s0, s1
	s_delay_alu instid0(SALU_CYCLE_1)
	s_and_saveexec_b32 s3, s1
; %bb.14:                               ;   in Loop: Header=BB43_3 Depth=1
	v_add_co_u32 v25, s1, s16, v17
	s_delay_alu instid0(VALU_DEP_1) | instskip(NEXT) | instid1(VALU_DEP_2)
	v_add_co_ci_u32_e64 v26, s1, s17, v18, s1
	v_add_co_u32 v27, s1, v25, s26
	s_delay_alu instid0(VALU_DEP_1)
	v_add_co_ci_u32_e64 v28, s1, s27, v26, s1
	s_clause 0x1
	global_store_b32 v[25:26], v19, off offset:64
	global_store_b32 v[27:28], v20, off offset:64
; %bb.15:                               ;   in Loop: Header=BB43_3 Depth=1
	s_or_b32 exec_lo, exec_lo, s3
	v_add_nc_u32_e32 v14, 32, v16
	s_delay_alu instid0(VALU_DEP_1) | instskip(NEXT) | instid1(VALU_DEP_1)
	v_cmp_gt_u32_e64 s1, s5, v14
	s_and_b32 s13, vcc_lo, s1
	s_delay_alu instid0(SALU_CYCLE_1)
	s_and_saveexec_b32 s3, s13
	s_cbranch_execz .LBB43_17
; %bb.16:                               ;   in Loop: Header=BB43_3 Depth=1
	v_add_co_u32 v14, vcc_lo, s16, v17
	v_add_co_ci_u32_e32 v16, vcc_lo, s17, v18, vcc_lo
	s_delay_alu instid0(VALU_DEP_2) | instskip(NEXT) | instid1(VALU_DEP_2)
	v_add_co_u32 v19, vcc_lo, v14, s30
	v_add_co_ci_u32_e32 v20, vcc_lo, s31, v16, vcc_lo
	v_add_co_u32 v25, vcc_lo, v14, s28
	v_add_co_ci_u32_e32 v26, vcc_lo, s29, v16, vcc_lo
	s_waitcnt lgkmcnt(0)
	s_clause 0x1
	global_store_b32 v[19:20], v8, off
	global_store_b32 v[25:26], v10, off
.LBB43_17:                              ;   in Loop: Header=BB43_3 Depth=1
	s_or_b32 exec_lo, exec_lo, s3
	s_and_b32 s1, s0, s1
	s_delay_alu instid0(SALU_CYCLE_1)
	s_and_saveexec_b32 s0, s1
	s_cbranch_execz .LBB43_2
; %bb.18:                               ;   in Loop: Header=BB43_3 Depth=1
	s_waitcnt lgkmcnt(0)
	v_add_co_u32 v8, vcc_lo, s16, v17
	v_add_co_ci_u32_e32 v10, vcc_lo, s17, v18, vcc_lo
	s_delay_alu instid0(VALU_DEP_2) | instskip(NEXT) | instid1(VALU_DEP_2)
	v_add_co_u32 v16, vcc_lo, v8, s30
	v_add_co_ci_u32_e32 v17, vcc_lo, s31, v10, vcc_lo
	v_add_co_u32 v18, vcc_lo, v8, s28
	v_add_co_ci_u32_e32 v19, vcc_lo, s29, v10, vcc_lo
	s_clause 0x1
	global_store_b32 v[16:17], v9, off offset:64
	global_store_b32 v[18:19], v11, off offset:64
	s_branch .LBB43_2
.LBB43_19:
	s_nop 0
	s_sendmsg sendmsg(MSG_DEALLOC_VGPRS)
	s_endpgm
	.section	.rodata,"a",@progbits
	.p2align	6, 0x0
	.amdhsa_kernel batched_transpose_64x64_pack_4x4_ediv_2x2_half
		.amdhsa_group_segment_fixed_size 8704
		.amdhsa_private_segment_fixed_size 0
		.amdhsa_kernarg_size 48
		.amdhsa_user_sgpr_count 15
		.amdhsa_user_sgpr_dispatch_ptr 0
		.amdhsa_user_sgpr_queue_ptr 0
		.amdhsa_user_sgpr_kernarg_segment_ptr 1
		.amdhsa_user_sgpr_dispatch_id 0
		.amdhsa_user_sgpr_private_segment_size 0
		.amdhsa_wavefront_size32 1
		.amdhsa_uses_dynamic_stack 0
		.amdhsa_enable_private_segment 0
		.amdhsa_system_sgpr_workgroup_id_x 1
		.amdhsa_system_sgpr_workgroup_id_y 0
		.amdhsa_system_sgpr_workgroup_id_z 0
		.amdhsa_system_sgpr_workgroup_info 0
		.amdhsa_system_vgpr_workitem_id 0
		.amdhsa_next_free_vgpr 31
		.amdhsa_next_free_sgpr 41
		.amdhsa_reserve_vcc 1
		.amdhsa_float_round_mode_32 0
		.amdhsa_float_round_mode_16_64 0
		.amdhsa_float_denorm_mode_32 3
		.amdhsa_float_denorm_mode_16_64 3
		.amdhsa_dx10_clamp 1
		.amdhsa_ieee_mode 1
		.amdhsa_fp16_overflow 0
		.amdhsa_workgroup_processor_mode 1
		.amdhsa_memory_ordered 1
		.amdhsa_forward_progress 0
		.amdhsa_shared_vgpr_count 0
		.amdhsa_exception_fp_ieee_invalid_op 0
		.amdhsa_exception_fp_denorm_src 0
		.amdhsa_exception_fp_ieee_div_zero 0
		.amdhsa_exception_fp_ieee_overflow 0
		.amdhsa_exception_fp_ieee_underflow 0
		.amdhsa_exception_fp_ieee_inexact 0
		.amdhsa_exception_int_div_zero 0
	.end_amdhsa_kernel
	.text
.Lfunc_end43:
	.size	batched_transpose_64x64_pack_4x4_ediv_2x2_half, .Lfunc_end43-batched_transpose_64x64_pack_4x4_ediv_2x2_half
                                        ; -- End function
	.section	.AMDGPU.csdata,"",@progbits
; Kernel info:
; codeLenInByte = 1360
; NumSgprs: 43
; NumVgprs: 31
; ScratchSize: 0
; MemoryBound: 0
; FloatMode: 240
; IeeeMode: 1
; LDSByteSize: 8704 bytes/workgroup (compile time only)
; SGPRBlocks: 5
; VGPRBlocks: 3
; NumSGPRsForWavesPerEU: 43
; NumVGPRsForWavesPerEU: 31
; Occupancy: 16
; WaveLimiterHint : 0
; COMPUTE_PGM_RSRC2:SCRATCH_EN: 0
; COMPUTE_PGM_RSRC2:USER_SGPR: 15
; COMPUTE_PGM_RSRC2:TRAP_HANDLER: 0
; COMPUTE_PGM_RSRC2:TGID_X_EN: 1
; COMPUTE_PGM_RSRC2:TGID_Y_EN: 0
; COMPUTE_PGM_RSRC2:TGID_Z_EN: 0
; COMPUTE_PGM_RSRC2:TIDIG_COMP_CNT: 0
	.text
	.p2alignl 7, 3214868480
	.fill 96, 4, 3214868480
	.type	__hip_cuid_2fa98fc08fee908e,@object ; @__hip_cuid_2fa98fc08fee908e
	.section	.bss,"aw",@nobits
	.globl	__hip_cuid_2fa98fc08fee908e
__hip_cuid_2fa98fc08fee908e:
	.byte	0                               ; 0x0
	.size	__hip_cuid_2fa98fc08fee908e, 1

	.ident	"AMD clang version 19.0.0git (https://github.com/RadeonOpenCompute/llvm-project roc-6.4.0 25133 c7fe45cf4b819c5991fe208aaa96edf142730f1d)"
	.section	".note.GNU-stack","",@progbits
	.addrsig
	.addrsig_sym __hip_cuid_2fa98fc08fee908e
	.amdgpu_metadata
---
amdhsa.kernels:
  - .args:
      - .address_space:  global
        .offset:         0
        .size:           8
        .value_kind:     global_buffer
      - .address_space:  global
        .offset:         8
        .size:           8
        .value_kind:     global_buffer
      - .offset:         16
        .size:           4
        .value_kind:     by_value
      - .offset:         20
        .size:           4
        .value_kind:     by_value
      - .offset:         24
        .size:           4
        .value_kind:     by_value
      - .offset:         28
        .size:           4
        .value_kind:     by_value
      - .offset:         32
        .size:           4
        .value_kind:     by_value
      - .offset:         36
        .size:           4
        .value_kind:     by_value
      - .offset:         40
        .size:           4
        .value_kind:     by_value
      - .offset:         44
        .size:           4
        .value_kind:     by_value
    .group_segment_fixed_size: 1088
    .kernarg_segment_align: 8
    .kernarg_segment_size: 48
    .language:       OpenCL C
    .language_version:
      - 2
      - 0
    .max_flat_workgroup_size: 256
    .name:           batched_transpose_16x16_dword
    .private_segment_fixed_size: 0
    .sgpr_count:     25
    .sgpr_spill_count: 0
    .symbol:         batched_transpose_16x16_dword.kd
    .uniform_work_group_size: 1
    .uses_dynamic_stack: false
    .vgpr_count:     13
    .vgpr_spill_count: 0
    .wavefront_size: 32
    .workgroup_processor_mode: 1
  - .args:
      - .address_space:  global
        .offset:         0
        .size:           8
        .value_kind:     global_buffer
      - .address_space:  global
        .offset:         8
        .size:           8
        .value_kind:     global_buffer
      - .offset:         16
        .size:           4
        .value_kind:     by_value
      - .offset:         20
        .size:           4
        .value_kind:     by_value
      - .offset:         24
        .size:           4
        .value_kind:     by_value
      - .offset:         28
        .size:           4
        .value_kind:     by_value
      - .offset:         32
        .size:           4
        .value_kind:     by_value
      - .offset:         36
        .size:           4
        .value_kind:     by_value
      - .offset:         40
        .size:           4
        .value_kind:     by_value
      - .offset:         44
        .size:           4
        .value_kind:     by_value
    .group_segment_fixed_size: 576
    .kernarg_segment_align: 8
    .kernarg_segment_size: 48
    .language:       OpenCL C
    .language_version:
      - 2
      - 0
    .max_flat_workgroup_size: 256
    .name:           batched_transpose_16x16_half
    .private_segment_fixed_size: 0
    .sgpr_count:     25
    .sgpr_spill_count: 0
    .symbol:         batched_transpose_16x16_half.kd
    .uniform_work_group_size: 1
    .uses_dynamic_stack: false
    .vgpr_count:     13
    .vgpr_spill_count: 0
    .wavefront_size: 32
    .workgroup_processor_mode: 1
  - .args:
      - .address_space:  global
        .offset:         0
        .size:           8
        .value_kind:     global_buffer
      - .address_space:  global
        .offset:         8
        .size:           8
        .value_kind:     global_buffer
      - .offset:         16
        .size:           4
        .value_kind:     by_value
      - .offset:         20
        .size:           4
        .value_kind:     by_value
      - .offset:         24
        .size:           4
        .value_kind:     by_value
      - .offset:         28
        .size:           4
        .value_kind:     by_value
      - .offset:         32
        .size:           4
        .value_kind:     by_value
      - .offset:         36
        .size:           4
        .value_kind:     by_value
      - .offset:         40
        .size:           4
        .value_kind:     by_value
      - .offset:         44
        .size:           4
        .value_kind:     by_value
    .group_segment_fixed_size: 320
    .kernarg_segment_align: 8
    .kernarg_segment_size: 48
    .language:       OpenCL C
    .language_version:
      - 2
      - 0
    .max_flat_workgroup_size: 256
    .name:           batched_transpose_16x16_byte
    .private_segment_fixed_size: 0
    .sgpr_count:     25
    .sgpr_spill_count: 0
    .symbol:         batched_transpose_16x16_byte.kd
    .uniform_work_group_size: 1
    .uses_dynamic_stack: false
    .vgpr_count:     13
    .vgpr_spill_count: 0
    .wavefront_size: 32
    .workgroup_processor_mode: 1
  - .args:
      - .address_space:  global
        .offset:         0
        .size:           8
        .value_kind:     global_buffer
      - .address_space:  global
        .offset:         8
        .size:           8
        .value_kind:     global_buffer
      - .offset:         16
        .size:           4
        .value_kind:     by_value
      - .offset:         20
        .size:           4
        .value_kind:     by_value
      - .offset:         24
        .size:           4
        .value_kind:     by_value
      - .offset:         28
        .size:           4
        .value_kind:     by_value
      - .offset:         32
        .size:           4
        .value_kind:     by_value
      - .offset:         36
        .size:           4
        .value_kind:     by_value
      - .offset:         40
        .size:           4
        .value_kind:     by_value
      - .offset:         44
        .size:           4
        .value_kind:     by_value
    .group_segment_fixed_size: 2176
    .kernarg_segment_align: 8
    .kernarg_segment_size: 48
    .language:       OpenCL C
    .language_version:
      - 2
      - 0
    .max_flat_workgroup_size: 256
    .name:           batched_transpose_32x16_dword
    .private_segment_fixed_size: 0
    .sgpr_count:     29
    .sgpr_spill_count: 0
    .symbol:         batched_transpose_32x16_dword.kd
    .uniform_work_group_size: 1
    .uses_dynamic_stack: false
    .vgpr_count:     16
    .vgpr_spill_count: 0
    .wavefront_size: 32
    .workgroup_processor_mode: 1
  - .args:
      - .address_space:  global
        .offset:         0
        .size:           8
        .value_kind:     global_buffer
      - .address_space:  global
        .offset:         8
        .size:           8
        .value_kind:     global_buffer
      - .offset:         16
        .size:           4
        .value_kind:     by_value
      - .offset:         20
        .size:           4
        .value_kind:     by_value
      - .offset:         24
        .size:           4
        .value_kind:     by_value
      - .offset:         28
        .size:           4
        .value_kind:     by_value
      - .offset:         32
        .size:           4
        .value_kind:     by_value
      - .offset:         36
        .size:           4
        .value_kind:     by_value
      - .offset:         40
        .size:           4
        .value_kind:     by_value
      - .offset:         44
        .size:           4
        .value_kind:     by_value
    .group_segment_fixed_size: 1152
    .kernarg_segment_align: 8
    .kernarg_segment_size: 48
    .language:       OpenCL C
    .language_version:
      - 2
      - 0
    .max_flat_workgroup_size: 256
    .name:           batched_transpose_32x16_half
    .private_segment_fixed_size: 0
    .sgpr_count:     29
    .sgpr_spill_count: 0
    .symbol:         batched_transpose_32x16_half.kd
    .uniform_work_group_size: 1
    .uses_dynamic_stack: false
    .vgpr_count:     16
    .vgpr_spill_count: 0
    .wavefront_size: 32
    .workgroup_processor_mode: 1
  - .args:
      - .address_space:  global
        .offset:         0
        .size:           8
        .value_kind:     global_buffer
      - .address_space:  global
        .offset:         8
        .size:           8
        .value_kind:     global_buffer
      - .offset:         16
        .size:           4
        .value_kind:     by_value
      - .offset:         20
        .size:           4
        .value_kind:     by_value
      - .offset:         24
        .size:           4
        .value_kind:     by_value
      - .offset:         28
        .size:           4
        .value_kind:     by_value
      - .offset:         32
        .size:           4
        .value_kind:     by_value
      - .offset:         36
        .size:           4
        .value_kind:     by_value
      - .offset:         40
        .size:           4
        .value_kind:     by_value
      - .offset:         44
        .size:           4
        .value_kind:     by_value
    .group_segment_fixed_size: 640
    .kernarg_segment_align: 8
    .kernarg_segment_size: 48
    .language:       OpenCL C
    .language_version:
      - 2
      - 0
    .max_flat_workgroup_size: 256
    .name:           batched_transpose_32x16_byte
    .private_segment_fixed_size: 0
    .sgpr_count:     29
    .sgpr_spill_count: 0
    .symbol:         batched_transpose_32x16_byte.kd
    .uniform_work_group_size: 1
    .uses_dynamic_stack: false
    .vgpr_count:     16
    .vgpr_spill_count: 0
    .wavefront_size: 32
    .workgroup_processor_mode: 1
  - .args:
      - .address_space:  global
        .offset:         0
        .size:           8
        .value_kind:     global_buffer
      - .address_space:  global
        .offset:         8
        .size:           8
        .value_kind:     global_buffer
      - .offset:         16
        .size:           4
        .value_kind:     by_value
      - .offset:         20
        .size:           4
        .value_kind:     by_value
      - .offset:         24
        .size:           4
        .value_kind:     by_value
      - .offset:         28
        .size:           4
        .value_kind:     by_value
      - .offset:         32
        .size:           4
        .value_kind:     by_value
      - .offset:         36
        .size:           4
        .value_kind:     by_value
      - .offset:         40
        .size:           4
        .value_kind:     by_value
      - .offset:         44
        .size:           4
        .value_kind:     by_value
    .group_segment_fixed_size: 2176
    .kernarg_segment_align: 8
    .kernarg_segment_size: 48
    .language:       OpenCL C
    .language_version:
      - 2
      - 0
    .max_flat_workgroup_size: 256
    .name:           batched_transpose_16x32_dword
    .private_segment_fixed_size: 0
    .sgpr_count:     29
    .sgpr_spill_count: 0
    .symbol:         batched_transpose_16x32_dword.kd
    .uniform_work_group_size: 1
    .uses_dynamic_stack: false
    .vgpr_count:     16
    .vgpr_spill_count: 0
    .wavefront_size: 32
    .workgroup_processor_mode: 1
  - .args:
      - .address_space:  global
        .offset:         0
        .size:           8
        .value_kind:     global_buffer
      - .address_space:  global
        .offset:         8
        .size:           8
        .value_kind:     global_buffer
      - .offset:         16
        .size:           4
        .value_kind:     by_value
      - .offset:         20
        .size:           4
        .value_kind:     by_value
      - .offset:         24
        .size:           4
        .value_kind:     by_value
      - .offset:         28
        .size:           4
        .value_kind:     by_value
      - .offset:         32
        .size:           4
        .value_kind:     by_value
      - .offset:         36
        .size:           4
        .value_kind:     by_value
      - .offset:         40
        .size:           4
        .value_kind:     by_value
      - .offset:         44
        .size:           4
        .value_kind:     by_value
    .group_segment_fixed_size: 1152
    .kernarg_segment_align: 8
    .kernarg_segment_size: 48
    .language:       OpenCL C
    .language_version:
      - 2
      - 0
    .max_flat_workgroup_size: 256
    .name:           batched_transpose_16x32_half
    .private_segment_fixed_size: 0
    .sgpr_count:     29
    .sgpr_spill_count: 0
    .symbol:         batched_transpose_16x32_half.kd
    .uniform_work_group_size: 1
    .uses_dynamic_stack: false
    .vgpr_count:     16
    .vgpr_spill_count: 0
    .wavefront_size: 32
    .workgroup_processor_mode: 1
  - .args:
      - .address_space:  global
        .offset:         0
        .size:           8
        .value_kind:     global_buffer
      - .address_space:  global
        .offset:         8
        .size:           8
        .value_kind:     global_buffer
      - .offset:         16
        .size:           4
        .value_kind:     by_value
      - .offset:         20
        .size:           4
        .value_kind:     by_value
      - .offset:         24
        .size:           4
        .value_kind:     by_value
      - .offset:         28
        .size:           4
        .value_kind:     by_value
      - .offset:         32
        .size:           4
        .value_kind:     by_value
      - .offset:         36
        .size:           4
        .value_kind:     by_value
      - .offset:         40
        .size:           4
        .value_kind:     by_value
      - .offset:         44
        .size:           4
        .value_kind:     by_value
    .group_segment_fixed_size: 640
    .kernarg_segment_align: 8
    .kernarg_segment_size: 48
    .language:       OpenCL C
    .language_version:
      - 2
      - 0
    .max_flat_workgroup_size: 256
    .name:           batched_transpose_16x32_byte
    .private_segment_fixed_size: 0
    .sgpr_count:     29
    .sgpr_spill_count: 0
    .symbol:         batched_transpose_16x32_byte.kd
    .uniform_work_group_size: 1
    .uses_dynamic_stack: false
    .vgpr_count:     16
    .vgpr_spill_count: 0
    .wavefront_size: 32
    .workgroup_processor_mode: 1
  - .args:
      - .address_space:  global
        .offset:         0
        .size:           8
        .value_kind:     global_buffer
      - .address_space:  global
        .offset:         8
        .size:           8
        .value_kind:     global_buffer
      - .offset:         16
        .size:           4
        .value_kind:     by_value
      - .offset:         20
        .size:           4
        .value_kind:     by_value
      - .offset:         24
        .size:           4
        .value_kind:     by_value
      - .offset:         28
        .size:           4
        .value_kind:     by_value
      - .offset:         32
        .size:           4
        .value_kind:     by_value
      - .offset:         36
        .size:           4
        .value_kind:     by_value
      - .offset:         40
        .size:           4
        .value_kind:     by_value
      - .offset:         44
        .size:           4
        .value_kind:     by_value
    .group_segment_fixed_size: 4352
    .kernarg_segment_align: 8
    .kernarg_segment_size: 48
    .language:       OpenCL C
    .language_version:
      - 2
      - 0
    .max_flat_workgroup_size: 256
    .name:           batched_transpose_32x32_dword
    .private_segment_fixed_size: 0
    .sgpr_count:     40
    .sgpr_spill_count: 0
    .symbol:         batched_transpose_32x32_dword.kd
    .uniform_work_group_size: 1
    .uses_dynamic_stack: false
    .vgpr_count:     19
    .vgpr_spill_count: 0
    .wavefront_size: 32
    .workgroup_processor_mode: 1
  - .args:
      - .address_space:  global
        .offset:         0
        .size:           8
        .value_kind:     global_buffer
      - .address_space:  global
        .offset:         8
        .size:           8
        .value_kind:     global_buffer
      - .offset:         16
        .size:           4
        .value_kind:     by_value
      - .offset:         20
        .size:           4
        .value_kind:     by_value
      - .offset:         24
        .size:           4
        .value_kind:     by_value
      - .offset:         28
        .size:           4
        .value_kind:     by_value
      - .offset:         32
        .size:           4
        .value_kind:     by_value
      - .offset:         36
        .size:           4
        .value_kind:     by_value
      - .offset:         40
        .size:           4
        .value_kind:     by_value
      - .offset:         44
        .size:           4
        .value_kind:     by_value
    .group_segment_fixed_size: 2176
    .kernarg_segment_align: 8
    .kernarg_segment_size: 48
    .language:       OpenCL C
    .language_version:
      - 2
      - 0
    .max_flat_workgroup_size: 256
    .name:           batched_transpose_32x32_half
    .private_segment_fixed_size: 0
    .sgpr_count:     40
    .sgpr_spill_count: 0
    .symbol:         batched_transpose_32x32_half.kd
    .uniform_work_group_size: 1
    .uses_dynamic_stack: false
    .vgpr_count:     19
    .vgpr_spill_count: 0
    .wavefront_size: 32
    .workgroup_processor_mode: 1
  - .args:
      - .address_space:  global
        .offset:         0
        .size:           8
        .value_kind:     global_buffer
      - .address_space:  global
        .offset:         8
        .size:           8
        .value_kind:     global_buffer
      - .offset:         16
        .size:           4
        .value_kind:     by_value
      - .offset:         20
        .size:           4
        .value_kind:     by_value
      - .offset:         24
        .size:           4
        .value_kind:     by_value
      - .offset:         28
        .size:           4
        .value_kind:     by_value
      - .offset:         32
        .size:           4
        .value_kind:     by_value
      - .offset:         36
        .size:           4
        .value_kind:     by_value
      - .offset:         40
        .size:           4
        .value_kind:     by_value
      - .offset:         44
        .size:           4
        .value_kind:     by_value
    .group_segment_fixed_size: 1088
    .kernarg_segment_align: 8
    .kernarg_segment_size: 48
    .language:       OpenCL C
    .language_version:
      - 2
      - 0
    .max_flat_workgroup_size: 256
    .name:           batched_transpose_32x32_byte
    .private_segment_fixed_size: 0
    .sgpr_count:     40
    .sgpr_spill_count: 0
    .symbol:         batched_transpose_32x32_byte.kd
    .uniform_work_group_size: 1
    .uses_dynamic_stack: false
    .vgpr_count:     18
    .vgpr_spill_count: 0
    .wavefront_size: 32
    .workgroup_processor_mode: 1
  - .args:
      - .address_space:  global
        .offset:         0
        .size:           8
        .value_kind:     global_buffer
      - .address_space:  global
        .offset:         8
        .size:           8
        .value_kind:     global_buffer
      - .offset:         16
        .size:           4
        .value_kind:     by_value
      - .offset:         20
        .size:           4
        .value_kind:     by_value
      - .offset:         24
        .size:           4
        .value_kind:     by_value
      - .offset:         28
        .size:           4
        .value_kind:     by_value
      - .offset:         32
        .size:           4
        .value_kind:     by_value
      - .offset:         36
        .size:           4
        .value_kind:     by_value
      - .offset:         40
        .size:           4
        .value_kind:     by_value
      - .offset:         44
        .size:           4
        .value_kind:     by_value
    .group_segment_fixed_size: 0
    .kernarg_segment_align: 8
    .kernarg_segment_size: 48
    .language:       OpenCL C
    .language_version:
      - 2
      - 0
    .max_flat_workgroup_size: 256
    .name:           batched_transpose_4x256_dword
    .private_segment_fixed_size: 0
    .sgpr_count:     42
    .sgpr_spill_count: 0
    .symbol:         batched_transpose_4x256_dword.kd
    .uniform_work_group_size: 1
    .uses_dynamic_stack: false
    .vgpr_count:     12
    .vgpr_spill_count: 0
    .wavefront_size: 32
    .workgroup_processor_mode: 1
  - .args:
      - .address_space:  global
        .offset:         0
        .size:           8
        .value_kind:     global_buffer
      - .address_space:  global
        .offset:         8
        .size:           8
        .value_kind:     global_buffer
      - .offset:         16
        .size:           4
        .value_kind:     by_value
      - .offset:         20
        .size:           4
        .value_kind:     by_value
      - .offset:         24
        .size:           4
        .value_kind:     by_value
      - .offset:         28
        .size:           4
        .value_kind:     by_value
      - .offset:         32
        .size:           4
        .value_kind:     by_value
      - .offset:         36
        .size:           4
        .value_kind:     by_value
      - .offset:         40
        .size:           4
        .value_kind:     by_value
      - .offset:         44
        .size:           4
        .value_kind:     by_value
    .group_segment_fixed_size: 0
    .kernarg_segment_align: 8
    .kernarg_segment_size: 48
    .language:       OpenCL C
    .language_version:
      - 2
      - 0
    .max_flat_workgroup_size: 256
    .name:           batched_transpose_4x256_half
    .private_segment_fixed_size: 0
    .sgpr_count:     42
    .sgpr_spill_count: 0
    .symbol:         batched_transpose_4x256_half.kd
    .uniform_work_group_size: 1
    .uses_dynamic_stack: false
    .vgpr_count:     12
    .vgpr_spill_count: 0
    .wavefront_size: 32
    .workgroup_processor_mode: 1
  - .args:
      - .address_space:  global
        .offset:         0
        .size:           8
        .value_kind:     global_buffer
      - .address_space:  global
        .offset:         8
        .size:           8
        .value_kind:     global_buffer
      - .offset:         16
        .size:           4
        .value_kind:     by_value
      - .offset:         20
        .size:           4
        .value_kind:     by_value
      - .offset:         24
        .size:           4
        .value_kind:     by_value
      - .offset:         28
        .size:           4
        .value_kind:     by_value
      - .offset:         32
        .size:           4
        .value_kind:     by_value
      - .offset:         36
        .size:           4
        .value_kind:     by_value
      - .offset:         40
        .size:           4
        .value_kind:     by_value
      - .offset:         44
        .size:           4
        .value_kind:     by_value
    .group_segment_fixed_size: 0
    .kernarg_segment_align: 8
    .kernarg_segment_size: 48
    .language:       OpenCL C
    .language_version:
      - 2
      - 0
    .max_flat_workgroup_size: 256
    .name:           batched_transpose_4x256_byte
    .private_segment_fixed_size: 0
    .sgpr_count:     41
    .sgpr_spill_count: 0
    .symbol:         batched_transpose_4x256_byte.kd
    .uniform_work_group_size: 1
    .uses_dynamic_stack: false
    .vgpr_count:     13
    .vgpr_spill_count: 0
    .wavefront_size: 32
    .workgroup_processor_mode: 1
  - .args:
      - .address_space:  global
        .offset:         0
        .size:           8
        .value_kind:     global_buffer
      - .address_space:  global
        .offset:         8
        .size:           8
        .value_kind:     global_buffer
      - .offset:         16
        .size:           4
        .value_kind:     by_value
      - .offset:         20
        .size:           4
        .value_kind:     by_value
      - .offset:         24
        .size:           4
        .value_kind:     by_value
      - .offset:         28
        .size:           4
        .value_kind:     by_value
      - .offset:         32
        .size:           4
        .value_kind:     by_value
      - .offset:         36
        .size:           4
        .value_kind:     by_value
      - .offset:         40
        .size:           4
        .value_kind:     by_value
      - .offset:         44
        .size:           4
        .value_kind:     by_value
    .group_segment_fixed_size: 0
    .kernarg_segment_align: 8
    .kernarg_segment_size: 48
    .language:       OpenCL C
    .language_version:
      - 2
      - 0
    .max_flat_workgroup_size: 256
    .name:           batched_transpose_256x4_dword
    .private_segment_fixed_size: 0
    .sgpr_count:     40
    .sgpr_spill_count: 0
    .symbol:         batched_transpose_256x4_dword.kd
    .uniform_work_group_size: 1
    .uses_dynamic_stack: false
    .vgpr_count:     12
    .vgpr_spill_count: 0
    .wavefront_size: 32
    .workgroup_processor_mode: 1
  - .args:
      - .address_space:  global
        .offset:         0
        .size:           8
        .value_kind:     global_buffer
      - .address_space:  global
        .offset:         8
        .size:           8
        .value_kind:     global_buffer
      - .offset:         16
        .size:           4
        .value_kind:     by_value
      - .offset:         20
        .size:           4
        .value_kind:     by_value
      - .offset:         24
        .size:           4
        .value_kind:     by_value
      - .offset:         28
        .size:           4
        .value_kind:     by_value
      - .offset:         32
        .size:           4
        .value_kind:     by_value
      - .offset:         36
        .size:           4
        .value_kind:     by_value
      - .offset:         40
        .size:           4
        .value_kind:     by_value
      - .offset:         44
        .size:           4
        .value_kind:     by_value
    .group_segment_fixed_size: 0
    .kernarg_segment_align: 8
    .kernarg_segment_size: 48
    .language:       OpenCL C
    .language_version:
      - 2
      - 0
    .max_flat_workgroup_size: 256
    .name:           batched_transpose_256x4_half
    .private_segment_fixed_size: 0
    .sgpr_count:     40
    .sgpr_spill_count: 0
    .symbol:         batched_transpose_256x4_half.kd
    .uniform_work_group_size: 1
    .uses_dynamic_stack: false
    .vgpr_count:     12
    .vgpr_spill_count: 0
    .wavefront_size: 32
    .workgroup_processor_mode: 1
  - .args:
      - .address_space:  global
        .offset:         0
        .size:           8
        .value_kind:     global_buffer
      - .address_space:  global
        .offset:         8
        .size:           8
        .value_kind:     global_buffer
      - .offset:         16
        .size:           4
        .value_kind:     by_value
      - .offset:         20
        .size:           4
        .value_kind:     by_value
      - .offset:         24
        .size:           4
        .value_kind:     by_value
      - .offset:         28
        .size:           4
        .value_kind:     by_value
      - .offset:         32
        .size:           4
        .value_kind:     by_value
      - .offset:         36
        .size:           4
        .value_kind:     by_value
      - .offset:         40
        .size:           4
        .value_kind:     by_value
      - .offset:         44
        .size:           4
        .value_kind:     by_value
    .group_segment_fixed_size: 0
    .kernarg_segment_align: 8
    .kernarg_segment_size: 48
    .language:       OpenCL C
    .language_version:
      - 2
      - 0
    .max_flat_workgroup_size: 256
    .name:           batched_transpose_256x4_byte
    .private_segment_fixed_size: 0
    .sgpr_count:     40
    .sgpr_spill_count: 0
    .symbol:         batched_transpose_256x4_byte.kd
    .uniform_work_group_size: 1
    .uses_dynamic_stack: false
    .vgpr_count:     13
    .vgpr_spill_count: 0
    .wavefront_size: 32
    .workgroup_processor_mode: 1
  - .args:
      - .address_space:  global
        .offset:         0
        .size:           8
        .value_kind:     global_buffer
      - .address_space:  global
        .offset:         8
        .size:           8
        .value_kind:     global_buffer
      - .offset:         16
        .size:           4
        .value_kind:     by_value
      - .offset:         20
        .size:           4
        .value_kind:     by_value
      - .offset:         24
        .size:           4
        .value_kind:     by_value
      - .offset:         28
        .size:           4
        .value_kind:     by_value
      - .offset:         32
        .size:           4
        .value_kind:     by_value
      - .offset:         36
        .size:           4
        .value_kind:     by_value
      - .offset:         40
        .size:           4
        .value_kind:     by_value
      - .offset:         44
        .size:           4
        .value_kind:     by_value
    .group_segment_fixed_size: 0
    .kernarg_segment_align: 8
    .kernarg_segment_size: 48
    .language:       OpenCL C
    .language_version:
      - 2
      - 0
    .max_flat_workgroup_size: 256
    .name:           batched_transpose_4x128_dword
    .private_segment_fixed_size: 0
    .sgpr_count:     27
    .sgpr_spill_count: 0
    .symbol:         batched_transpose_4x128_dword.kd
    .uniform_work_group_size: 1
    .uses_dynamic_stack: false
    .vgpr_count:     13
    .vgpr_spill_count: 0
    .wavefront_size: 32
    .workgroup_processor_mode: 1
  - .args:
      - .address_space:  global
        .offset:         0
        .size:           8
        .value_kind:     global_buffer
      - .address_space:  global
        .offset:         8
        .size:           8
        .value_kind:     global_buffer
      - .offset:         16
        .size:           4
        .value_kind:     by_value
      - .offset:         20
        .size:           4
        .value_kind:     by_value
      - .offset:         24
        .size:           4
        .value_kind:     by_value
      - .offset:         28
        .size:           4
        .value_kind:     by_value
      - .offset:         32
        .size:           4
        .value_kind:     by_value
      - .offset:         36
        .size:           4
        .value_kind:     by_value
      - .offset:         40
        .size:           4
        .value_kind:     by_value
      - .offset:         44
        .size:           4
        .value_kind:     by_value
    .group_segment_fixed_size: 0
    .kernarg_segment_align: 8
    .kernarg_segment_size: 48
    .language:       OpenCL C
    .language_version:
      - 2
      - 0
    .max_flat_workgroup_size: 256
    .name:           batched_transpose_4x128_half
    .private_segment_fixed_size: 0
    .sgpr_count:     27
    .sgpr_spill_count: 0
    .symbol:         batched_transpose_4x128_half.kd
    .uniform_work_group_size: 1
    .uses_dynamic_stack: false
    .vgpr_count:     13
    .vgpr_spill_count: 0
    .wavefront_size: 32
    .workgroup_processor_mode: 1
  - .args:
      - .address_space:  global
        .offset:         0
        .size:           8
        .value_kind:     global_buffer
      - .address_space:  global
        .offset:         8
        .size:           8
        .value_kind:     global_buffer
      - .offset:         16
        .size:           4
        .value_kind:     by_value
      - .offset:         20
        .size:           4
        .value_kind:     by_value
      - .offset:         24
        .size:           4
        .value_kind:     by_value
      - .offset:         28
        .size:           4
        .value_kind:     by_value
      - .offset:         32
        .size:           4
        .value_kind:     by_value
      - .offset:         36
        .size:           4
        .value_kind:     by_value
      - .offset:         40
        .size:           4
        .value_kind:     by_value
      - .offset:         44
        .size:           4
        .value_kind:     by_value
    .group_segment_fixed_size: 0
    .kernarg_segment_align: 8
    .kernarg_segment_size: 48
    .language:       OpenCL C
    .language_version:
      - 2
      - 0
    .max_flat_workgroup_size: 256
    .name:           batched_transpose_4x128_byte
    .private_segment_fixed_size: 0
    .sgpr_count:     27
    .sgpr_spill_count: 0
    .symbol:         batched_transpose_4x128_byte.kd
    .uniform_work_group_size: 1
    .uses_dynamic_stack: false
    .vgpr_count:     14
    .vgpr_spill_count: 0
    .wavefront_size: 32
    .workgroup_processor_mode: 1
  - .args:
      - .address_space:  global
        .offset:         0
        .size:           8
        .value_kind:     global_buffer
      - .address_space:  global
        .offset:         8
        .size:           8
        .value_kind:     global_buffer
      - .offset:         16
        .size:           4
        .value_kind:     by_value
      - .offset:         20
        .size:           4
        .value_kind:     by_value
      - .offset:         24
        .size:           4
        .value_kind:     by_value
      - .offset:         28
        .size:           4
        .value_kind:     by_value
      - .offset:         32
        .size:           4
        .value_kind:     by_value
      - .offset:         36
        .size:           4
        .value_kind:     by_value
      - .offset:         40
        .size:           4
        .value_kind:     by_value
      - .offset:         44
        .size:           4
        .value_kind:     by_value
    .group_segment_fixed_size: 0
    .kernarg_segment_align: 8
    .kernarg_segment_size: 48
    .language:       OpenCL C
    .language_version:
      - 2
      - 0
    .max_flat_workgroup_size: 256
    .name:           batched_transpose_128x4_dword
    .private_segment_fixed_size: 0
    .sgpr_count:     27
    .sgpr_spill_count: 0
    .symbol:         batched_transpose_128x4_dword.kd
    .uniform_work_group_size: 1
    .uses_dynamic_stack: false
    .vgpr_count:     13
    .vgpr_spill_count: 0
    .wavefront_size: 32
    .workgroup_processor_mode: 1
  - .args:
      - .address_space:  global
        .offset:         0
        .size:           8
        .value_kind:     global_buffer
      - .address_space:  global
        .offset:         8
        .size:           8
        .value_kind:     global_buffer
      - .offset:         16
        .size:           4
        .value_kind:     by_value
      - .offset:         20
        .size:           4
        .value_kind:     by_value
      - .offset:         24
        .size:           4
        .value_kind:     by_value
      - .offset:         28
        .size:           4
        .value_kind:     by_value
      - .offset:         32
        .size:           4
        .value_kind:     by_value
      - .offset:         36
        .size:           4
        .value_kind:     by_value
      - .offset:         40
        .size:           4
        .value_kind:     by_value
      - .offset:         44
        .size:           4
        .value_kind:     by_value
    .group_segment_fixed_size: 0
    .kernarg_segment_align: 8
    .kernarg_segment_size: 48
    .language:       OpenCL C
    .language_version:
      - 2
      - 0
    .max_flat_workgroup_size: 256
    .name:           batched_transpose_128x4_half
    .private_segment_fixed_size: 0
    .sgpr_count:     27
    .sgpr_spill_count: 0
    .symbol:         batched_transpose_128x4_half.kd
    .uniform_work_group_size: 1
    .uses_dynamic_stack: false
    .vgpr_count:     13
    .vgpr_spill_count: 0
    .wavefront_size: 32
    .workgroup_processor_mode: 1
  - .args:
      - .address_space:  global
        .offset:         0
        .size:           8
        .value_kind:     global_buffer
      - .address_space:  global
        .offset:         8
        .size:           8
        .value_kind:     global_buffer
      - .offset:         16
        .size:           4
        .value_kind:     by_value
      - .offset:         20
        .size:           4
        .value_kind:     by_value
      - .offset:         24
        .size:           4
        .value_kind:     by_value
      - .offset:         28
        .size:           4
        .value_kind:     by_value
      - .offset:         32
        .size:           4
        .value_kind:     by_value
      - .offset:         36
        .size:           4
        .value_kind:     by_value
      - .offset:         40
        .size:           4
        .value_kind:     by_value
      - .offset:         44
        .size:           4
        .value_kind:     by_value
    .group_segment_fixed_size: 0
    .kernarg_segment_align: 8
    .kernarg_segment_size: 48
    .language:       OpenCL C
    .language_version:
      - 2
      - 0
    .max_flat_workgroup_size: 256
    .name:           batched_transpose_128x4_byte
    .private_segment_fixed_size: 0
    .sgpr_count:     27
    .sgpr_spill_count: 0
    .symbol:         batched_transpose_128x4_byte.kd
    .uniform_work_group_size: 1
    .uses_dynamic_stack: false
    .vgpr_count:     14
    .vgpr_spill_count: 0
    .wavefront_size: 32
    .workgroup_processor_mode: 1
  - .args:
      - .address_space:  global
        .offset:         0
        .size:           8
        .value_kind:     global_buffer
      - .address_space:  global
        .offset:         8
        .size:           8
        .value_kind:     global_buffer
      - .offset:         16
        .size:           4
        .value_kind:     by_value
      - .offset:         20
        .size:           4
        .value_kind:     by_value
      - .offset:         24
        .size:           4
        .value_kind:     by_value
      - .offset:         28
        .size:           4
        .value_kind:     by_value
      - .offset:         32
        .size:           4
        .value_kind:     by_value
      - .offset:         36
        .size:           4
        .value_kind:     by_value
      - .offset:         40
        .size:           4
        .value_kind:     by_value
      - .offset:         44
        .size:           4
        .value_kind:     by_value
    .group_segment_fixed_size: 0
    .kernarg_segment_align: 8
    .kernarg_segment_size: 48
    .language:       OpenCL C
    .language_version:
      - 2
      - 0
    .max_flat_workgroup_size: 256
    .name:           batched_transpose_4x64_dword
    .private_segment_fixed_size: 0
    .sgpr_count:     22
    .sgpr_spill_count: 0
    .symbol:         batched_transpose_4x64_dword.kd
    .uniform_work_group_size: 1
    .uses_dynamic_stack: false
    .vgpr_count:     11
    .vgpr_spill_count: 0
    .wavefront_size: 32
    .workgroup_processor_mode: 1
  - .args:
      - .address_space:  global
        .offset:         0
        .size:           8
        .value_kind:     global_buffer
      - .address_space:  global
        .offset:         8
        .size:           8
        .value_kind:     global_buffer
      - .offset:         16
        .size:           4
        .value_kind:     by_value
      - .offset:         20
        .size:           4
        .value_kind:     by_value
      - .offset:         24
        .size:           4
        .value_kind:     by_value
      - .offset:         28
        .size:           4
        .value_kind:     by_value
      - .offset:         32
        .size:           4
        .value_kind:     by_value
      - .offset:         36
        .size:           4
        .value_kind:     by_value
      - .offset:         40
        .size:           4
        .value_kind:     by_value
      - .offset:         44
        .size:           4
        .value_kind:     by_value
    .group_segment_fixed_size: 0
    .kernarg_segment_align: 8
    .kernarg_segment_size: 48
    .language:       OpenCL C
    .language_version:
      - 2
      - 0
    .max_flat_workgroup_size: 256
    .name:           batched_transpose_4x64_half
    .private_segment_fixed_size: 0
    .sgpr_count:     22
    .sgpr_spill_count: 0
    .symbol:         batched_transpose_4x64_half.kd
    .uniform_work_group_size: 1
    .uses_dynamic_stack: false
    .vgpr_count:     11
    .vgpr_spill_count: 0
    .wavefront_size: 32
    .workgroup_processor_mode: 1
  - .args:
      - .address_space:  global
        .offset:         0
        .size:           8
        .value_kind:     global_buffer
      - .address_space:  global
        .offset:         8
        .size:           8
        .value_kind:     global_buffer
      - .offset:         16
        .size:           4
        .value_kind:     by_value
      - .offset:         20
        .size:           4
        .value_kind:     by_value
      - .offset:         24
        .size:           4
        .value_kind:     by_value
      - .offset:         28
        .size:           4
        .value_kind:     by_value
      - .offset:         32
        .size:           4
        .value_kind:     by_value
      - .offset:         36
        .size:           4
        .value_kind:     by_value
      - .offset:         40
        .size:           4
        .value_kind:     by_value
      - .offset:         44
        .size:           4
        .value_kind:     by_value
    .group_segment_fixed_size: 0
    .kernarg_segment_align: 8
    .kernarg_segment_size: 48
    .language:       OpenCL C
    .language_version:
      - 2
      - 0
    .max_flat_workgroup_size: 256
    .name:           batched_transpose_4x64_byte
    .private_segment_fixed_size: 0
    .sgpr_count:     22
    .sgpr_spill_count: 0
    .symbol:         batched_transpose_4x64_byte.kd
    .uniform_work_group_size: 1
    .uses_dynamic_stack: false
    .vgpr_count:     11
    .vgpr_spill_count: 0
    .wavefront_size: 32
    .workgroup_processor_mode: 1
  - .args:
      - .address_space:  global
        .offset:         0
        .size:           8
        .value_kind:     global_buffer
      - .address_space:  global
        .offset:         8
        .size:           8
        .value_kind:     global_buffer
      - .offset:         16
        .size:           4
        .value_kind:     by_value
      - .offset:         20
        .size:           4
        .value_kind:     by_value
      - .offset:         24
        .size:           4
        .value_kind:     by_value
      - .offset:         28
        .size:           4
        .value_kind:     by_value
      - .offset:         32
        .size:           4
        .value_kind:     by_value
      - .offset:         36
        .size:           4
        .value_kind:     by_value
      - .offset:         40
        .size:           4
        .value_kind:     by_value
      - .offset:         44
        .size:           4
        .value_kind:     by_value
    .group_segment_fixed_size: 0
    .kernarg_segment_align: 8
    .kernarg_segment_size: 48
    .language:       OpenCL C
    .language_version:
      - 2
      - 0
    .max_flat_workgroup_size: 256
    .name:           batched_transpose_64x4_dword
    .private_segment_fixed_size: 0
    .sgpr_count:     22
    .sgpr_spill_count: 0
    .symbol:         batched_transpose_64x4_dword.kd
    .uniform_work_group_size: 1
    .uses_dynamic_stack: false
    .vgpr_count:     11
    .vgpr_spill_count: 0
    .wavefront_size: 32
    .workgroup_processor_mode: 1
  - .args:
      - .address_space:  global
        .offset:         0
        .size:           8
        .value_kind:     global_buffer
      - .address_space:  global
        .offset:         8
        .size:           8
        .value_kind:     global_buffer
      - .offset:         16
        .size:           4
        .value_kind:     by_value
      - .offset:         20
        .size:           4
        .value_kind:     by_value
      - .offset:         24
        .size:           4
        .value_kind:     by_value
      - .offset:         28
        .size:           4
        .value_kind:     by_value
      - .offset:         32
        .size:           4
        .value_kind:     by_value
      - .offset:         36
        .size:           4
        .value_kind:     by_value
      - .offset:         40
        .size:           4
        .value_kind:     by_value
      - .offset:         44
        .size:           4
        .value_kind:     by_value
    .group_segment_fixed_size: 0
    .kernarg_segment_align: 8
    .kernarg_segment_size: 48
    .language:       OpenCL C
    .language_version:
      - 2
      - 0
    .max_flat_workgroup_size: 256
    .name:           batched_transpose_64x4_half
    .private_segment_fixed_size: 0
    .sgpr_count:     22
    .sgpr_spill_count: 0
    .symbol:         batched_transpose_64x4_half.kd
    .uniform_work_group_size: 1
    .uses_dynamic_stack: false
    .vgpr_count:     11
    .vgpr_spill_count: 0
    .wavefront_size: 32
    .workgroup_processor_mode: 1
  - .args:
      - .address_space:  global
        .offset:         0
        .size:           8
        .value_kind:     global_buffer
      - .address_space:  global
        .offset:         8
        .size:           8
        .value_kind:     global_buffer
      - .offset:         16
        .size:           4
        .value_kind:     by_value
      - .offset:         20
        .size:           4
        .value_kind:     by_value
      - .offset:         24
        .size:           4
        .value_kind:     by_value
      - .offset:         28
        .size:           4
        .value_kind:     by_value
      - .offset:         32
        .size:           4
        .value_kind:     by_value
      - .offset:         36
        .size:           4
        .value_kind:     by_value
      - .offset:         40
        .size:           4
        .value_kind:     by_value
      - .offset:         44
        .size:           4
        .value_kind:     by_value
    .group_segment_fixed_size: 0
    .kernarg_segment_align: 8
    .kernarg_segment_size: 48
    .language:       OpenCL C
    .language_version:
      - 2
      - 0
    .max_flat_workgroup_size: 256
    .name:           batched_transpose_64x4_byte
    .private_segment_fixed_size: 0
    .sgpr_count:     22
    .sgpr_spill_count: 0
    .symbol:         batched_transpose_64x4_byte.kd
    .uniform_work_group_size: 1
    .uses_dynamic_stack: false
    .vgpr_count:     11
    .vgpr_spill_count: 0
    .wavefront_size: 32
    .workgroup_processor_mode: 1
  - .args:
      - .address_space:  global
        .offset:         0
        .size:           8
        .value_kind:     global_buffer
      - .address_space:  global
        .offset:         8
        .size:           8
        .value_kind:     global_buffer
      - .offset:         16
        .size:           4
        .value_kind:     by_value
      - .offset:         20
        .size:           4
        .value_kind:     by_value
      - .offset:         24
        .size:           4
        .value_kind:     by_value
      - .offset:         28
        .size:           4
        .value_kind:     by_value
      - .offset:         32
        .size:           4
        .value_kind:     by_value
      - .offset:         36
        .size:           4
        .value_kind:     by_value
      - .offset:         40
        .size:           4
        .value_kind:     by_value
      - .offset:         44
        .size:           4
        .value_kind:     by_value
    .group_segment_fixed_size: 2176
    .kernarg_segment_align: 8
    .kernarg_segment_size: 48
    .language:       OpenCL C
    .language_version:
      - 2
      - 0
    .max_flat_workgroup_size: 256
    .name:           batched_transpose_32x32_pack_2x2_ediv_2x2_half
    .private_segment_fixed_size: 0
    .sgpr_count:     32
    .sgpr_spill_count: 0
    .symbol:         batched_transpose_32x32_pack_2x2_ediv_2x2_half.kd
    .uniform_work_group_size: 1
    .uses_dynamic_stack: false
    .vgpr_count:     15
    .vgpr_spill_count: 0
    .wavefront_size: 32
    .workgroup_processor_mode: 1
  - .args:
      - .address_space:  global
        .offset:         0
        .size:           8
        .value_kind:     global_buffer
      - .address_space:  global
        .offset:         8
        .size:           8
        .value_kind:     global_buffer
      - .offset:         16
        .size:           4
        .value_kind:     by_value
      - .offset:         20
        .size:           4
        .value_kind:     by_value
      - .offset:         24
        .size:           4
        .value_kind:     by_value
      - .offset:         28
        .size:           4
        .value_kind:     by_value
      - .offset:         32
        .size:           4
        .value_kind:     by_value
      - .offset:         36
        .size:           4
        .value_kind:     by_value
      - .offset:         40
        .size:           4
        .value_kind:     by_value
      - .offset:         44
        .size:           4
        .value_kind:     by_value
    .group_segment_fixed_size: 2176
    .kernarg_segment_align: 8
    .kernarg_segment_size: 48
    .language:       OpenCL C
    .language_version:
      - 2
      - 0
    .max_flat_workgroup_size: 256
    .name:           batched_transpose_32x32_pack_2x2_ediv_1x2_half
    .private_segment_fixed_size: 0
    .sgpr_count:     30
    .sgpr_spill_count: 0
    .symbol:         batched_transpose_32x32_pack_2x2_ediv_1x2_half.kd
    .uniform_work_group_size: 1
    .uses_dynamic_stack: false
    .vgpr_count:     17
    .vgpr_spill_count: 0
    .wavefront_size: 32
    .workgroup_processor_mode: 1
  - .args:
      - .address_space:  global
        .offset:         0
        .size:           8
        .value_kind:     global_buffer
      - .address_space:  global
        .offset:         8
        .size:           8
        .value_kind:     global_buffer
      - .offset:         16
        .size:           4
        .value_kind:     by_value
      - .offset:         20
        .size:           4
        .value_kind:     by_value
      - .offset:         24
        .size:           4
        .value_kind:     by_value
      - .offset:         28
        .size:           4
        .value_kind:     by_value
      - .offset:         32
        .size:           4
        .value_kind:     by_value
      - .offset:         36
        .size:           4
        .value_kind:     by_value
      - .offset:         40
        .size:           4
        .value_kind:     by_value
      - .offset:         44
        .size:           4
        .value_kind:     by_value
    .group_segment_fixed_size: 2176
    .kernarg_segment_align: 8
    .kernarg_segment_size: 48
    .language:       OpenCL C
    .language_version:
      - 2
      - 0
    .max_flat_workgroup_size: 256
    .name:           batched_transpose_32x32_pack_2x2_ediv_2x1_half
    .private_segment_fixed_size: 0
    .sgpr_count:     32
    .sgpr_spill_count: 0
    .symbol:         batched_transpose_32x32_pack_2x2_ediv_2x1_half.kd
    .uniform_work_group_size: 1
    .uses_dynamic_stack: false
    .vgpr_count:     18
    .vgpr_spill_count: 0
    .wavefront_size: 32
    .workgroup_processor_mode: 1
  - .args:
      - .address_space:  global
        .offset:         0
        .size:           8
        .value_kind:     global_buffer
      - .address_space:  global
        .offset:         8
        .size:           8
        .value_kind:     global_buffer
      - .offset:         16
        .size:           4
        .value_kind:     by_value
      - .offset:         20
        .size:           4
        .value_kind:     by_value
      - .offset:         24
        .size:           4
        .value_kind:     by_value
      - .offset:         28
        .size:           4
        .value_kind:     by_value
      - .offset:         32
        .size:           4
        .value_kind:     by_value
      - .offset:         36
        .size:           4
        .value_kind:     by_value
      - .offset:         40
        .size:           4
        .value_kind:     by_value
      - .offset:         44
        .size:           4
        .value_kind:     by_value
    .group_segment_fixed_size: 2176
    .kernarg_segment_align: 8
    .kernarg_segment_size: 48
    .language:       OpenCL C
    .language_version:
      - 2
      - 0
    .max_flat_workgroup_size: 256
    .name:           batched_transpose_32x32_pack_2x2_ediv_1x1_half
    .private_segment_fixed_size: 0
    .sgpr_count:     40
    .sgpr_spill_count: 0
    .symbol:         batched_transpose_32x32_pack_2x2_ediv_1x1_half.kd
    .uniform_work_group_size: 1
    .uses_dynamic_stack: false
    .vgpr_count:     16
    .vgpr_spill_count: 0
    .wavefront_size: 32
    .workgroup_processor_mode: 1
  - .args:
      - .address_space:  global
        .offset:         0
        .size:           8
        .value_kind:     global_buffer
      - .address_space:  global
        .offset:         8
        .size:           8
        .value_kind:     global_buffer
      - .offset:         16
        .size:           4
        .value_kind:     by_value
      - .offset:         20
        .size:           4
        .value_kind:     by_value
      - .offset:         24
        .size:           4
        .value_kind:     by_value
      - .offset:         28
        .size:           4
        .value_kind:     by_value
      - .offset:         32
        .size:           4
        .value_kind:     by_value
      - .offset:         36
        .size:           4
        .value_kind:     by_value
      - .offset:         40
        .size:           4
        .value_kind:     by_value
      - .offset:         44
        .size:           4
        .value_kind:     by_value
    .group_segment_fixed_size: 4352
    .kernarg_segment_align: 8
    .kernarg_segment_size: 48
    .language:       OpenCL C
    .language_version:
      - 2
      - 0
    .max_flat_workgroup_size: 256
    .name:           batched_transpose_64x32_pack_4x2_ediv_4x2_half
    .private_segment_fixed_size: 0
    .sgpr_count:     37
    .sgpr_spill_count: 0
    .symbol:         batched_transpose_64x32_pack_4x2_ediv_4x2_half.kd
    .uniform_work_group_size: 1
    .uses_dynamic_stack: false
    .vgpr_count:     20
    .vgpr_spill_count: 0
    .wavefront_size: 32
    .workgroup_processor_mode: 1
  - .args:
      - .address_space:  global
        .offset:         0
        .size:           8
        .value_kind:     global_buffer
      - .address_space:  global
        .offset:         8
        .size:           8
        .value_kind:     global_buffer
      - .offset:         16
        .size:           4
        .value_kind:     by_value
      - .offset:         20
        .size:           4
        .value_kind:     by_value
      - .offset:         24
        .size:           4
        .value_kind:     by_value
      - .offset:         28
        .size:           4
        .value_kind:     by_value
      - .offset:         32
        .size:           4
        .value_kind:     by_value
      - .offset:         36
        .size:           4
        .value_kind:     by_value
      - .offset:         40
        .size:           4
        .value_kind:     by_value
      - .offset:         44
        .size:           4
        .value_kind:     by_value
    .group_segment_fixed_size: 4352
    .kernarg_segment_align: 8
    .kernarg_segment_size: 48
    .language:       OpenCL C
    .language_version:
      - 2
      - 0
    .max_flat_workgroup_size: 256
    .name:           batched_transpose_64x32_pack_4x2_ediv_2x2_half
    .private_segment_fixed_size: 0
    .sgpr_count:     37
    .sgpr_spill_count: 0
    .symbol:         batched_transpose_64x32_pack_4x2_ediv_2x2_half.kd
    .uniform_work_group_size: 1
    .uses_dynamic_stack: false
    .vgpr_count:     23
    .vgpr_spill_count: 0
    .wavefront_size: 32
    .workgroup_processor_mode: 1
  - .args:
      - .address_space:  global
        .offset:         0
        .size:           8
        .value_kind:     global_buffer
      - .address_space:  global
        .offset:         8
        .size:           8
        .value_kind:     global_buffer
      - .offset:         16
        .size:           4
        .value_kind:     by_value
      - .offset:         20
        .size:           4
        .value_kind:     by_value
      - .offset:         24
        .size:           4
        .value_kind:     by_value
      - .offset:         28
        .size:           4
        .value_kind:     by_value
      - .offset:         32
        .size:           4
        .value_kind:     by_value
      - .offset:         36
        .size:           4
        .value_kind:     by_value
      - .offset:         40
        .size:           4
        .value_kind:     by_value
      - .offset:         44
        .size:           4
        .value_kind:     by_value
    .group_segment_fixed_size: 4352
    .kernarg_segment_align: 8
    .kernarg_segment_size: 48
    .language:       OpenCL C
    .language_version:
      - 2
      - 0
    .max_flat_workgroup_size: 256
    .name:           batched_transpose_64x32_pack_4x2_ediv_2x1_half
    .private_segment_fixed_size: 0
    .sgpr_count:     43
    .sgpr_spill_count: 0
    .symbol:         batched_transpose_64x32_pack_4x2_ediv_2x1_half.kd
    .uniform_work_group_size: 1
    .uses_dynamic_stack: false
    .vgpr_count:     25
    .vgpr_spill_count: 0
    .wavefront_size: 32
    .workgroup_processor_mode: 1
  - .args:
      - .address_space:  global
        .offset:         0
        .size:           8
        .value_kind:     global_buffer
      - .address_space:  global
        .offset:         8
        .size:           8
        .value_kind:     global_buffer
      - .offset:         16
        .size:           4
        .value_kind:     by_value
      - .offset:         20
        .size:           4
        .value_kind:     by_value
      - .offset:         24
        .size:           4
        .value_kind:     by_value
      - .offset:         28
        .size:           4
        .value_kind:     by_value
      - .offset:         32
        .size:           4
        .value_kind:     by_value
      - .offset:         36
        .size:           4
        .value_kind:     by_value
      - .offset:         40
        .size:           4
        .value_kind:     by_value
      - .offset:         44
        .size:           4
        .value_kind:     by_value
    .group_segment_fixed_size: 4352
    .kernarg_segment_align: 8
    .kernarg_segment_size: 48
    .language:       OpenCL C
    .language_version:
      - 2
      - 0
    .max_flat_workgroup_size: 256
    .name:           batched_transpose_32x64_pack_2x4_ediv_2x4_half
    .private_segment_fixed_size: 0
    .sgpr_count:     37
    .sgpr_spill_count: 0
    .symbol:         batched_transpose_32x64_pack_2x4_ediv_2x4_half.kd
    .uniform_work_group_size: 1
    .uses_dynamic_stack: false
    .vgpr_count:     16
    .vgpr_spill_count: 0
    .wavefront_size: 32
    .workgroup_processor_mode: 1
  - .args:
      - .address_space:  global
        .offset:         0
        .size:           8
        .value_kind:     global_buffer
      - .address_space:  global
        .offset:         8
        .size:           8
        .value_kind:     global_buffer
      - .offset:         16
        .size:           4
        .value_kind:     by_value
      - .offset:         20
        .size:           4
        .value_kind:     by_value
      - .offset:         24
        .size:           4
        .value_kind:     by_value
      - .offset:         28
        .size:           4
        .value_kind:     by_value
      - .offset:         32
        .size:           4
        .value_kind:     by_value
      - .offset:         36
        .size:           4
        .value_kind:     by_value
      - .offset:         40
        .size:           4
        .value_kind:     by_value
      - .offset:         44
        .size:           4
        .value_kind:     by_value
    .group_segment_fixed_size: 4352
    .kernarg_segment_align: 8
    .kernarg_segment_size: 48
    .language:       OpenCL C
    .language_version:
      - 2
      - 0
    .max_flat_workgroup_size: 256
    .name:           batched_transpose_32x64_pack_2x4_ediv_2x2_half
    .private_segment_fixed_size: 0
    .sgpr_count:     37
    .sgpr_spill_count: 0
    .symbol:         batched_transpose_32x64_pack_2x4_ediv_2x2_half.kd
    .uniform_work_group_size: 1
    .uses_dynamic_stack: false
    .vgpr_count:     22
    .vgpr_spill_count: 0
    .wavefront_size: 32
    .workgroup_processor_mode: 1
  - .args:
      - .address_space:  global
        .offset:         0
        .size:           8
        .value_kind:     global_buffer
      - .address_space:  global
        .offset:         8
        .size:           8
        .value_kind:     global_buffer
      - .offset:         16
        .size:           4
        .value_kind:     by_value
      - .offset:         20
        .size:           4
        .value_kind:     by_value
      - .offset:         24
        .size:           4
        .value_kind:     by_value
      - .offset:         28
        .size:           4
        .value_kind:     by_value
      - .offset:         32
        .size:           4
        .value_kind:     by_value
      - .offset:         36
        .size:           4
        .value_kind:     by_value
      - .offset:         40
        .size:           4
        .value_kind:     by_value
      - .offset:         44
        .size:           4
        .value_kind:     by_value
    .group_segment_fixed_size: 4352
    .kernarg_segment_align: 8
    .kernarg_segment_size: 48
    .language:       OpenCL C
    .language_version:
      - 2
      - 0
    .max_flat_workgroup_size: 256
    .name:           batched_transpose_32x64_pack_2x4_ediv_1x2_half
    .private_segment_fixed_size: 0
    .sgpr_count:     41
    .sgpr_spill_count: 0
    .symbol:         batched_transpose_32x64_pack_2x4_ediv_1x2_half.kd
    .uniform_work_group_size: 1
    .uses_dynamic_stack: false
    .vgpr_count:     22
    .vgpr_spill_count: 0
    .wavefront_size: 32
    .workgroup_processor_mode: 1
  - .args:
      - .address_space:  global
        .offset:         0
        .size:           8
        .value_kind:     global_buffer
      - .address_space:  global
        .offset:         8
        .size:           8
        .value_kind:     global_buffer
      - .offset:         16
        .size:           4
        .value_kind:     by_value
      - .offset:         20
        .size:           4
        .value_kind:     by_value
      - .offset:         24
        .size:           4
        .value_kind:     by_value
      - .offset:         28
        .size:           4
        .value_kind:     by_value
      - .offset:         32
        .size:           4
        .value_kind:     by_value
      - .offset:         36
        .size:           4
        .value_kind:     by_value
      - .offset:         40
        .size:           4
        .value_kind:     by_value
      - .offset:         44
        .size:           4
        .value_kind:     by_value
    .group_segment_fixed_size: 2176
    .kernarg_segment_align: 8
    .kernarg_segment_size: 48
    .language:       OpenCL C
    .language_version:
      - 2
      - 0
    .max_flat_workgroup_size: 256
    .name:           batched_transpose_16x64_pack_1x4_ediv_1x2_half
    .private_segment_fixed_size: 0
    .sgpr_count:     34
    .sgpr_spill_count: 0
    .symbol:         batched_transpose_16x64_pack_1x4_ediv_1x2_half.kd
    .uniform_work_group_size: 1
    .uses_dynamic_stack: false
    .vgpr_count:     19
    .vgpr_spill_count: 0
    .wavefront_size: 32
    .workgroup_processor_mode: 1
  - .args:
      - .address_space:  global
        .offset:         0
        .size:           8
        .value_kind:     global_buffer
      - .address_space:  global
        .offset:         8
        .size:           8
        .value_kind:     global_buffer
      - .offset:         16
        .size:           4
        .value_kind:     by_value
      - .offset:         20
        .size:           4
        .value_kind:     by_value
      - .offset:         24
        .size:           4
        .value_kind:     by_value
      - .offset:         28
        .size:           4
        .value_kind:     by_value
      - .offset:         32
        .size:           4
        .value_kind:     by_value
      - .offset:         36
        .size:           4
        .value_kind:     by_value
      - .offset:         40
        .size:           4
        .value_kind:     by_value
      - .offset:         44
        .size:           4
        .value_kind:     by_value
    .group_segment_fixed_size: 2176
    .kernarg_segment_align: 8
    .kernarg_segment_size: 48
    .language:       OpenCL C
    .language_version:
      - 2
      - 0
    .max_flat_workgroup_size: 256
    .name:           batched_transpose_64x16_pack_4x1_ediv_2x1_half
    .private_segment_fixed_size: 0
    .sgpr_count:     37
    .sgpr_spill_count: 0
    .symbol:         batched_transpose_64x16_pack_4x1_ediv_2x1_half.kd
    .uniform_work_group_size: 1
    .uses_dynamic_stack: false
    .vgpr_count:     18
    .vgpr_spill_count: 0
    .wavefront_size: 32
    .workgroup_processor_mode: 1
  - .args:
      - .address_space:  global
        .offset:         0
        .size:           8
        .value_kind:     global_buffer
      - .address_space:  global
        .offset:         8
        .size:           8
        .value_kind:     global_buffer
      - .offset:         16
        .size:           4
        .value_kind:     by_value
      - .offset:         20
        .size:           4
        .value_kind:     by_value
      - .offset:         24
        .size:           4
        .value_kind:     by_value
      - .offset:         28
        .size:           4
        .value_kind:     by_value
      - .offset:         32
        .size:           4
        .value_kind:     by_value
      - .offset:         36
        .size:           4
        .value_kind:     by_value
      - .offset:         40
        .size:           4
        .value_kind:     by_value
      - .offset:         44
        .size:           4
        .value_kind:     by_value
    .group_segment_fixed_size: 8704
    .kernarg_segment_align: 8
    .kernarg_segment_size: 48
    .language:       OpenCL C
    .language_version:
      - 2
      - 0
    .max_flat_workgroup_size: 256
    .name:           batched_transpose_64x64_pack_4x4_ediv_4x4_half
    .private_segment_fixed_size: 0
    .sgpr_count:     41
    .sgpr_spill_count: 0
    .symbol:         batched_transpose_64x64_pack_4x4_ediv_4x4_half.kd
    .uniform_work_group_size: 1
    .uses_dynamic_stack: false
    .vgpr_count:     32
    .vgpr_spill_count: 0
    .wavefront_size: 32
    .workgroup_processor_mode: 1
  - .args:
      - .address_space:  global
        .offset:         0
        .size:           8
        .value_kind:     global_buffer
      - .address_space:  global
        .offset:         8
        .size:           8
        .value_kind:     global_buffer
      - .offset:         16
        .size:           4
        .value_kind:     by_value
      - .offset:         20
        .size:           4
        .value_kind:     by_value
      - .offset:         24
        .size:           4
        .value_kind:     by_value
      - .offset:         28
        .size:           4
        .value_kind:     by_value
      - .offset:         32
        .size:           4
        .value_kind:     by_value
      - .offset:         36
        .size:           4
        .value_kind:     by_value
      - .offset:         40
        .size:           4
        .value_kind:     by_value
      - .offset:         44
        .size:           4
        .value_kind:     by_value
    .group_segment_fixed_size: 8704
    .kernarg_segment_align: 8
    .kernarg_segment_size: 48
    .language:       OpenCL C
    .language_version:
      - 2
      - 0
    .max_flat_workgroup_size: 256
    .name:           batched_transpose_64x64_pack_4x4_ediv_2x2_half
    .private_segment_fixed_size: 0
    .sgpr_count:     43
    .sgpr_spill_count: 0
    .symbol:         batched_transpose_64x64_pack_4x4_ediv_2x2_half.kd
    .uniform_work_group_size: 1
    .uses_dynamic_stack: false
    .vgpr_count:     31
    .vgpr_spill_count: 0
    .wavefront_size: 32
    .workgroup_processor_mode: 1
amdhsa.target:   amdgcn-amd-amdhsa--gfx1100
amdhsa.version:
  - 1
  - 2
...

	.end_amdgpu_metadata
